;; amdgpu-corpus repo=ROCm/rocSPARSE kind=compiled arch=gfx90a opt=O3
	.text
	.amdgcn_target "amdgcn-amd-amdhsa--gfx90a"
	.amdhsa_code_object_version 6
	.section	.text._ZN9rocsparseL22bsrxmvn_general_kernelILj64ELj8EfiifffEEv20rocsparse_direction_NS_24const_host_device_scalarIT1_EET3_PKS5_PKT2_SA_S7_PKT4_S5_PKT5_S4_PT6_21rocsparse_index_base_b,"axG",@progbits,_ZN9rocsparseL22bsrxmvn_general_kernelILj64ELj8EfiifffEEv20rocsparse_direction_NS_24const_host_device_scalarIT1_EET3_PKS5_PKT2_SA_S7_PKT4_S5_PKT5_S4_PT6_21rocsparse_index_base_b,comdat
	.globl	_ZN9rocsparseL22bsrxmvn_general_kernelILj64ELj8EfiifffEEv20rocsparse_direction_NS_24const_host_device_scalarIT1_EET3_PKS5_PKT2_SA_S7_PKT4_S5_PKT5_S4_PT6_21rocsparse_index_base_b ; -- Begin function _ZN9rocsparseL22bsrxmvn_general_kernelILj64ELj8EfiifffEEv20rocsparse_direction_NS_24const_host_device_scalarIT1_EET3_PKS5_PKT2_SA_S7_PKT4_S5_PKT5_S4_PT6_21rocsparse_index_base_b
	.p2align	8
	.type	_ZN9rocsparseL22bsrxmvn_general_kernelILj64ELj8EfiifffEEv20rocsparse_direction_NS_24const_host_device_scalarIT1_EET3_PKS5_PKT2_SA_S7_PKT4_S5_PKT5_S4_PT6_21rocsparse_index_base_b,@function
_ZN9rocsparseL22bsrxmvn_general_kernelILj64ELj8EfiifffEEv20rocsparse_direction_NS_24const_host_device_scalarIT1_EET3_PKS5_PKT2_SA_S7_PKT4_S5_PKT5_S4_PT6_21rocsparse_index_base_b: ; @_ZN9rocsparseL22bsrxmvn_general_kernelILj64ELj8EfiifffEEv20rocsparse_direction_NS_24const_host_device_scalarIT1_EET3_PKS5_PKT2_SA_S7_PKT4_S5_PKT5_S4_PT6_21rocsparse_index_base_b
; %bb.0:
	s_load_dwordx2 s[16:17], s[4:5], 0x60
	s_load_dwordx2 s[18:19], s[4:5], 0x8
	;; [unrolled: 1-line block ×3, first 2 shown]
	s_waitcnt lgkmcnt(0)
	s_bitcmp1_b32 s17, 0
	s_cselect_b64 s[2:3], -1, 0
	s_xor_b64 s[0:1], s[2:3], -1
	s_and_b64 vcc, exec, s[2:3]
	s_cbranch_vccnz .LBB0_2
; %bb.1:
	s_load_dword s18, s[18:19], 0x0
.LBB0_2:
	s_andn2_b64 vcc, exec, s[0:1]
	s_cbranch_vccnz .LBB0_4
; %bb.3:
	s_load_dword s20, s[20:21], 0x0
.LBB0_4:
	s_waitcnt lgkmcnt(0)
	v_cmp_neq_f32_e64 s[0:1], s18, 0
	v_cmp_neq_f32_e64 s[2:3], s20, 1.0
	s_or_b64 s[0:1], s[0:1], s[2:3]
	s_andn2_b64 vcc, exec, s[0:1]
	s_cbranch_vccnz .LBB0_26
; %bb.5:
	s_load_dwordx2 s[0:1], s[4:5], 0x18
	s_waitcnt lgkmcnt(0)
	s_cmp_eq_u64 s[0:1], 0
	s_cbranch_scc1 .LBB0_7
; %bb.6:
	s_ashr_i32 s7, s6, 31
	s_lshl_b64 s[2:3], s[6:7], 2
	s_add_u32 s0, s0, s2
	s_addc_u32 s1, s1, s3
	s_load_dword s0, s[0:1], 0x0
	s_waitcnt lgkmcnt(0)
	s_sub_i32 s6, s0, s16
.LBB0_7:
	s_load_dword s17, s[4:5], 0x40
	v_lshrrev_b32_e32 v2, 3, v0
	s_waitcnt lgkmcnt(0)
	v_cmp_gt_i32_e32 vcc, s17, v2
	s_and_saveexec_b64 s[0:1], vcc
	s_cbranch_execz .LBB0_26
; %bb.8:
	s_load_dwordx8 s[8:15], s[4:5], 0x20
	s_ashr_i32 s7, s6, 31
	s_lshl_b64 s[0:1], s[6:7], 2
	s_mul_hi_u32 s21, s17, s17
	s_mul_i32 s33, s17, s17
	s_waitcnt lgkmcnt(0)
	s_add_u32 s2, s8, s0
	s_addc_u32 s3, s9, s1
	s_load_dword s7, s[2:3], 0x0
	s_load_dwordx2 s[8:9], s[4:5], 0x58
	s_load_dwordx2 s[22:23], s[4:5], 0x48
	s_mul_i32 s37, s6, s17
	v_and_b32_e32 v0, 7, v0
	s_waitcnt lgkmcnt(0)
	s_sub_i32 s19, s7, s16
	s_add_u32 s2, s2, 4
	s_addc_u32 s3, s3, 0
	s_add_u32 s0, s10, s0
	s_addc_u32 s1, s11, s1
	s_cmp_eq_u64 s[10:11], 0
	s_cselect_b32 s1, s3, s1
	s_cselect_b32 s0, s2, s0
	s_load_dword s2, s[0:1], 0x0
	s_load_dword s3, s[4:5], 0x0
	s_mul_hi_u32 s28, s19, s33
	s_mov_b64 s[24:25], 0
	v_cmp_gt_u32_e64 s[0:1], s17, v0
	s_waitcnt lgkmcnt(0)
	s_sub_i32 s36, s2, s16
	s_cmp_lt_i32 s7, s2
	s_cselect_b64 s[4:5], -1, 0
	s_cmp_lg_u32 s3, 0
	s_cselect_b64 s[10:11], -1, 0
	s_ashr_i32 s6, s19, 31
	s_mul_i32 s7, s19, s21
	s_add_i32 s7, s28, s7
	s_mul_i32 s6, s6, s33
	v_cndmask_b32_e64 v3, 0, 1, s[4:5]
	v_cmp_eq_u32_e64 s[2:3], 7, v0
	v_cmp_eq_f32_e64 s[26:27], s20, 0
	s_add_i32 s38, s7, s6
	s_mul_i32 s39, s19, s33
	v_mul_lo_u32 v12, s17, v2
	s_lshl_b32 s40, s17, 3
	v_mov_b32_e32 v1, 0
	v_mul_lo_u32 v13, s17, v0
	v_cmp_ne_u32_e64 s[4:5], 1, v3
	s_branch .LBB0_10
.LBB0_9:                                ;   in Loop: Header=BB0_10 Depth=1
	s_or_b64 exec, exec, s[6:7]
	v_add_u32_e32 v2, 8, v2
	v_cmp_le_i32_e32 vcc, s17, v2
	s_or_b64 s[24:25], vcc, s[24:25]
	v_add_u32_e32 v12, s40, v12
	s_andn2_b64 exec, exec, s[24:25]
	s_cbranch_execz .LBB0_26
.LBB0_10:                               ; =>This Loop Header: Depth=1
                                        ;     Child Loop BB0_14 Depth 2
                                        ;       Child Loop BB0_17 Depth 3
	s_and_b64 vcc, exec, s[4:5]
	v_mov_b32_e32 v14, 0
	s_cbranch_vccnz .LBB0_21
; %bb.11:                               ;   in Loop: Header=BB0_10 Depth=1
	v_ashrrev_i32_e32 v3, 31, v12
	v_mov_b32_e32 v5, s38
	v_add_co_u32_e32 v4, vcc, s39, v12
	v_addc_co_u32_e32 v5, vcc, v5, v3, vcc
	v_ashrrev_i32_e32 v3, 31, v2
	v_mov_b32_e32 v14, 0
	s_mov_b32 s6, s19
	s_branch .LBB0_14
.LBB0_12:                               ;   in Loop: Header=BB0_14 Depth=2
	s_or_b64 exec, exec, s[30:31]
.LBB0_13:                               ;   in Loop: Header=BB0_14 Depth=2
	s_or_b64 exec, exec, s[28:29]
	s_add_i32 s6, s6, 1
	v_mov_b32_e32 v6, s21
	v_add_co_u32_e32 v4, vcc, s33, v4
	s_cmp_ge_i32 s6, s36
	v_addc_co_u32_e32 v5, vcc, v5, v6, vcc
	s_cbranch_scc1 .LBB0_21
.LBB0_14:                               ;   Parent Loop BB0_10 Depth=1
                                        ; =>  This Loop Header: Depth=2
                                        ;       Child Loop BB0_17 Depth 3
	s_and_saveexec_b64 s[28:29], s[0:1]
	s_cbranch_execz .LBB0_13
; %bb.15:                               ;   in Loop: Header=BB0_14 Depth=2
	s_ashr_i32 s7, s6, 31
	s_lshl_b64 s[30:31], s[6:7], 2
	s_add_u32 s30, s12, s30
	s_addc_u32 s31, s13, s31
	s_load_dword s30, s[30:31], 0x0
	s_mul_i32 s31, s21, s6
	v_mov_b32_e32 v6, s6
	s_mul_i32 s7, s33, s7
	s_add_i32 s7, s7, s31
	s_waitcnt lgkmcnt(0)
	s_sub_i32 s34, s30, s16
	v_mad_u64_u32 v[6:7], s[30:31], s33, v6, v[2:3]
	v_add_u32_e32 v7, s7, v7
	s_mul_i32 s7, s34, s17
	s_mov_b64 s[30:31], 0
	v_mov_b32_e32 v15, v13
	v_pk_mov_b32 v[8:9], v[0:1], v[0:1] op_sel:[0,1]
	s_branch .LBB0_17
.LBB0_16:                               ;   in Loop: Header=BB0_17 Depth=3
	v_lshlrev_b64 v[10:11], 2, v[10:11]
	v_mov_b32_e32 v16, s15
	v_add_co_u32_e32 v10, vcc, s14, v10
	v_addc_co_u32_e32 v11, vcc, v16, v11, vcc
	global_load_dword v16, v[10:11], off
	v_add_u32_e32 v10, s7, v8
	v_ashrrev_i32_e32 v11, 31, v10
	v_lshlrev_b64 v[10:11], 2, v[10:11]
	v_mov_b32_e32 v17, s23
	v_add_co_u32_e32 v10, vcc, s22, v10
	v_addc_co_u32_e32 v11, vcc, v17, v11, vcc
	global_load_dword v10, v[10:11], off
	v_add_co_u32_e32 v8, vcc, 8, v8
	v_addc_co_u32_e32 v9, vcc, 0, v9, vcc
	v_cmp_le_i32_e32 vcc, s17, v8
	s_or_b64 s[30:31], vcc, s[30:31]
	v_add_u32_e32 v15, s40, v15
	s_waitcnt vmcnt(0)
	v_fmac_f32_e32 v14, v16, v10
	s_andn2_b64 exec, exec, s[30:31]
	s_cbranch_execz .LBB0_12
.LBB0_17:                               ;   Parent Loop BB0_10 Depth=1
                                        ;     Parent Loop BB0_14 Depth=2
                                        ; =>    This Inner Loop Header: Depth=3
	s_and_b64 vcc, exec, s[10:11]
	s_cbranch_vccz .LBB0_19
; %bb.18:                               ;   in Loop: Header=BB0_17 Depth=3
	v_ashrrev_i32_e32 v11, 31, v15
	v_add_co_u32_e32 v10, vcc, v6, v15
	v_addc_co_u32_e32 v11, vcc, v7, v11, vcc
	s_cbranch_execnz .LBB0_16
	s_branch .LBB0_20
.LBB0_19:                               ;   in Loop: Header=BB0_17 Depth=3
                                        ; implicit-def: $vgpr10_vgpr11
.LBB0_20:                               ;   in Loop: Header=BB0_17 Depth=3
	v_add_co_u32_e32 v10, vcc, v4, v8
	v_addc_co_u32_e32 v11, vcc, v5, v9, vcc
	s_branch .LBB0_16
.LBB0_21:                               ;   in Loop: Header=BB0_10 Depth=1
	s_nop 0
	v_mov_b32_dpp v3, v14 row_shr:1 row_mask:0xf bank_mask:0xf
	v_add_f32_e32 v3, v14, v3
	s_nop 1
	v_mov_b32_dpp v4, v3 row_shr:2 row_mask:0xf bank_mask:0xf
	v_add_f32_e32 v3, v3, v4
	s_nop 1
	v_mov_b32_dpp v4, v3 row_shr:4 row_mask:0xf bank_mask:0xe
	s_and_saveexec_b64 s[6:7], s[2:3]
	s_cbranch_execz .LBB0_9
; %bb.22:                               ;   in Loop: Header=BB0_10 Depth=1
	v_add_f32_e32 v3, v3, v4
	v_add_u32_e32 v4, s37, v2
	s_and_b64 vcc, exec, s[26:27]
	v_mul_f32_e32 v3, s18, v3
	v_ashrrev_i32_e32 v5, 31, v4
	s_cbranch_vccz .LBB0_24
; %bb.23:                               ;   in Loop: Header=BB0_10 Depth=1
	v_lshlrev_b64 v[6:7], 2, v[4:5]
	v_mov_b32_e32 v8, s9
	v_add_co_u32_e32 v6, vcc, s8, v6
	v_addc_co_u32_e32 v7, vcc, v8, v7, vcc
	global_store_dword v[6:7], v3, off
	s_cbranch_execnz .LBB0_9
	s_branch .LBB0_25
.LBB0_24:                               ;   in Loop: Header=BB0_10 Depth=1
.LBB0_25:                               ;   in Loop: Header=BB0_10 Depth=1
	v_lshlrev_b64 v[4:5], 2, v[4:5]
	v_mov_b32_e32 v6, s9
	v_add_co_u32_e32 v4, vcc, s8, v4
	v_addc_co_u32_e32 v5, vcc, v6, v5, vcc
	global_load_dword v6, v[4:5], off
	s_waitcnt vmcnt(0)
	v_fmac_f32_e32 v3, s20, v6
	global_store_dword v[4:5], v3, off
	s_branch .LBB0_9
.LBB0_26:
	s_endpgm
	.section	.rodata,"a",@progbits
	.p2align	6, 0x0
	.amdhsa_kernel _ZN9rocsparseL22bsrxmvn_general_kernelILj64ELj8EfiifffEEv20rocsparse_direction_NS_24const_host_device_scalarIT1_EET3_PKS5_PKT2_SA_S7_PKT4_S5_PKT5_S4_PT6_21rocsparse_index_base_b
		.amdhsa_group_segment_fixed_size 0
		.amdhsa_private_segment_fixed_size 0
		.amdhsa_kernarg_size 104
		.amdhsa_user_sgpr_count 6
		.amdhsa_user_sgpr_private_segment_buffer 1
		.amdhsa_user_sgpr_dispatch_ptr 0
		.amdhsa_user_sgpr_queue_ptr 0
		.amdhsa_user_sgpr_kernarg_segment_ptr 1
		.amdhsa_user_sgpr_dispatch_id 0
		.amdhsa_user_sgpr_flat_scratch_init 0
		.amdhsa_user_sgpr_kernarg_preload_length 0
		.amdhsa_user_sgpr_kernarg_preload_offset 0
		.amdhsa_user_sgpr_private_segment_size 0
		.amdhsa_uses_dynamic_stack 0
		.amdhsa_system_sgpr_private_segment_wavefront_offset 0
		.amdhsa_system_sgpr_workgroup_id_x 1
		.amdhsa_system_sgpr_workgroup_id_y 0
		.amdhsa_system_sgpr_workgroup_id_z 0
		.amdhsa_system_sgpr_workgroup_info 0
		.amdhsa_system_vgpr_workitem_id 0
		.amdhsa_next_free_vgpr 18
		.amdhsa_next_free_sgpr 41
		.amdhsa_accum_offset 20
		.amdhsa_reserve_vcc 1
		.amdhsa_reserve_flat_scratch 0
		.amdhsa_float_round_mode_32 0
		.amdhsa_float_round_mode_16_64 0
		.amdhsa_float_denorm_mode_32 3
		.amdhsa_float_denorm_mode_16_64 3
		.amdhsa_dx10_clamp 1
		.amdhsa_ieee_mode 1
		.amdhsa_fp16_overflow 0
		.amdhsa_tg_split 0
		.amdhsa_exception_fp_ieee_invalid_op 0
		.amdhsa_exception_fp_denorm_src 0
		.amdhsa_exception_fp_ieee_div_zero 0
		.amdhsa_exception_fp_ieee_overflow 0
		.amdhsa_exception_fp_ieee_underflow 0
		.amdhsa_exception_fp_ieee_inexact 0
		.amdhsa_exception_int_div_zero 0
	.end_amdhsa_kernel
	.section	.text._ZN9rocsparseL22bsrxmvn_general_kernelILj64ELj8EfiifffEEv20rocsparse_direction_NS_24const_host_device_scalarIT1_EET3_PKS5_PKT2_SA_S7_PKT4_S5_PKT5_S4_PT6_21rocsparse_index_base_b,"axG",@progbits,_ZN9rocsparseL22bsrxmvn_general_kernelILj64ELj8EfiifffEEv20rocsparse_direction_NS_24const_host_device_scalarIT1_EET3_PKS5_PKT2_SA_S7_PKT4_S5_PKT5_S4_PT6_21rocsparse_index_base_b,comdat
.Lfunc_end0:
	.size	_ZN9rocsparseL22bsrxmvn_general_kernelILj64ELj8EfiifffEEv20rocsparse_direction_NS_24const_host_device_scalarIT1_EET3_PKS5_PKT2_SA_S7_PKT4_S5_PKT5_S4_PT6_21rocsparse_index_base_b, .Lfunc_end0-_ZN9rocsparseL22bsrxmvn_general_kernelILj64ELj8EfiifffEEv20rocsparse_direction_NS_24const_host_device_scalarIT1_EET3_PKS5_PKT2_SA_S7_PKT4_S5_PKT5_S4_PT6_21rocsparse_index_base_b
                                        ; -- End function
	.section	.AMDGPU.csdata,"",@progbits
; Kernel info:
; codeLenInByte = 928
; NumSgprs: 45
; NumVgprs: 18
; NumAgprs: 0
; TotalNumVgprs: 18
; ScratchSize: 0
; MemoryBound: 0
; FloatMode: 240
; IeeeMode: 1
; LDSByteSize: 0 bytes/workgroup (compile time only)
; SGPRBlocks: 5
; VGPRBlocks: 2
; NumSGPRsForWavesPerEU: 45
; NumVGPRsForWavesPerEU: 18
; AccumOffset: 20
; Occupancy: 8
; WaveLimiterHint : 1
; COMPUTE_PGM_RSRC2:SCRATCH_EN: 0
; COMPUTE_PGM_RSRC2:USER_SGPR: 6
; COMPUTE_PGM_RSRC2:TRAP_HANDLER: 0
; COMPUTE_PGM_RSRC2:TGID_X_EN: 1
; COMPUTE_PGM_RSRC2:TGID_Y_EN: 0
; COMPUTE_PGM_RSRC2:TGID_Z_EN: 0
; COMPUTE_PGM_RSRC2:TIDIG_COMP_CNT: 0
; COMPUTE_PGM_RSRC3_GFX90A:ACCUM_OFFSET: 4
; COMPUTE_PGM_RSRC3_GFX90A:TG_SPLIT: 0
	.section	.text._ZN9rocsparseL22bsrxmvn_general_kernelILj256ELj16EfiifffEEv20rocsparse_direction_NS_24const_host_device_scalarIT1_EET3_PKS5_PKT2_SA_S7_PKT4_S5_PKT5_S4_PT6_21rocsparse_index_base_b,"axG",@progbits,_ZN9rocsparseL22bsrxmvn_general_kernelILj256ELj16EfiifffEEv20rocsparse_direction_NS_24const_host_device_scalarIT1_EET3_PKS5_PKT2_SA_S7_PKT4_S5_PKT5_S4_PT6_21rocsparse_index_base_b,comdat
	.globl	_ZN9rocsparseL22bsrxmvn_general_kernelILj256ELj16EfiifffEEv20rocsparse_direction_NS_24const_host_device_scalarIT1_EET3_PKS5_PKT2_SA_S7_PKT4_S5_PKT5_S4_PT6_21rocsparse_index_base_b ; -- Begin function _ZN9rocsparseL22bsrxmvn_general_kernelILj256ELj16EfiifffEEv20rocsparse_direction_NS_24const_host_device_scalarIT1_EET3_PKS5_PKT2_SA_S7_PKT4_S5_PKT5_S4_PT6_21rocsparse_index_base_b
	.p2align	8
	.type	_ZN9rocsparseL22bsrxmvn_general_kernelILj256ELj16EfiifffEEv20rocsparse_direction_NS_24const_host_device_scalarIT1_EET3_PKS5_PKT2_SA_S7_PKT4_S5_PKT5_S4_PT6_21rocsparse_index_base_b,@function
_ZN9rocsparseL22bsrxmvn_general_kernelILj256ELj16EfiifffEEv20rocsparse_direction_NS_24const_host_device_scalarIT1_EET3_PKS5_PKT2_SA_S7_PKT4_S5_PKT5_S4_PT6_21rocsparse_index_base_b: ; @_ZN9rocsparseL22bsrxmvn_general_kernelILj256ELj16EfiifffEEv20rocsparse_direction_NS_24const_host_device_scalarIT1_EET3_PKS5_PKT2_SA_S7_PKT4_S5_PKT5_S4_PT6_21rocsparse_index_base_b
; %bb.0:
	s_load_dwordx2 s[16:17], s[4:5], 0x60
	s_load_dwordx2 s[18:19], s[4:5], 0x8
	;; [unrolled: 1-line block ×3, first 2 shown]
	s_waitcnt lgkmcnt(0)
	s_bitcmp1_b32 s17, 0
	s_cselect_b64 s[2:3], -1, 0
	s_xor_b64 s[0:1], s[2:3], -1
	s_and_b64 vcc, exec, s[2:3]
	s_cbranch_vccnz .LBB1_2
; %bb.1:
	s_load_dword s18, s[18:19], 0x0
.LBB1_2:
	s_andn2_b64 vcc, exec, s[0:1]
	s_cbranch_vccnz .LBB1_4
; %bb.3:
	s_load_dword s20, s[20:21], 0x0
.LBB1_4:
	s_waitcnt lgkmcnt(0)
	v_cmp_neq_f32_e64 s[0:1], s18, 0
	v_cmp_neq_f32_e64 s[2:3], s20, 1.0
	s_or_b64 s[0:1], s[0:1], s[2:3]
	s_andn2_b64 vcc, exec, s[0:1]
	s_cbranch_vccnz .LBB1_26
; %bb.5:
	s_load_dwordx2 s[0:1], s[4:5], 0x18
	s_waitcnt lgkmcnt(0)
	s_cmp_eq_u64 s[0:1], 0
	s_cbranch_scc1 .LBB1_7
; %bb.6:
	s_ashr_i32 s7, s6, 31
	s_lshl_b64 s[2:3], s[6:7], 2
	s_add_u32 s0, s0, s2
	s_addc_u32 s1, s1, s3
	s_load_dword s0, s[0:1], 0x0
	s_waitcnt lgkmcnt(0)
	s_sub_i32 s6, s0, s16
.LBB1_7:
	s_load_dword s17, s[4:5], 0x40
	v_lshrrev_b32_e32 v2, 4, v0
	s_waitcnt lgkmcnt(0)
	v_cmp_gt_i32_e32 vcc, s17, v2
	s_and_saveexec_b64 s[0:1], vcc
	s_cbranch_execz .LBB1_26
; %bb.8:
	s_load_dwordx8 s[8:15], s[4:5], 0x20
	s_ashr_i32 s7, s6, 31
	s_lshl_b64 s[0:1], s[6:7], 2
	s_mul_hi_u32 s21, s17, s17
	s_mul_i32 s33, s17, s17
	s_waitcnt lgkmcnt(0)
	s_add_u32 s2, s8, s0
	s_addc_u32 s3, s9, s1
	s_load_dword s7, s[2:3], 0x0
	s_load_dwordx2 s[8:9], s[4:5], 0x58
	s_load_dwordx2 s[22:23], s[4:5], 0x48
	s_mul_i32 s37, s6, s17
	v_and_b32_e32 v0, 15, v0
	s_waitcnt lgkmcnt(0)
	s_sub_i32 s19, s7, s16
	s_add_u32 s2, s2, 4
	s_addc_u32 s3, s3, 0
	s_add_u32 s0, s10, s0
	s_addc_u32 s1, s11, s1
	s_cmp_eq_u64 s[10:11], 0
	s_cselect_b32 s1, s3, s1
	s_cselect_b32 s0, s2, s0
	s_load_dword s2, s[0:1], 0x0
	s_load_dword s3, s[4:5], 0x0
	s_mul_hi_u32 s28, s19, s33
	s_mov_b64 s[24:25], 0
	v_cmp_gt_u32_e64 s[0:1], s17, v0
	s_waitcnt lgkmcnt(0)
	s_sub_i32 s36, s2, s16
	s_cmp_lt_i32 s7, s2
	s_cselect_b64 s[4:5], -1, 0
	s_cmp_lg_u32 s3, 0
	s_cselect_b64 s[10:11], -1, 0
	s_ashr_i32 s6, s19, 31
	s_mul_i32 s7, s19, s21
	s_add_i32 s7, s28, s7
	s_mul_i32 s6, s6, s33
	v_cndmask_b32_e64 v3, 0, 1, s[4:5]
	v_cmp_eq_u32_e64 s[2:3], 15, v0
	v_cmp_eq_f32_e64 s[26:27], s20, 0
	s_add_i32 s38, s7, s6
	s_mul_i32 s39, s19, s33
	v_mul_lo_u32 v12, s17, v2
	s_lshl_b32 s40, s17, 4
	v_mov_b32_e32 v1, 0
	v_mul_lo_u32 v13, s17, v0
	v_cmp_ne_u32_e64 s[4:5], 1, v3
	s_branch .LBB1_10
.LBB1_9:                                ;   in Loop: Header=BB1_10 Depth=1
	s_or_b64 exec, exec, s[6:7]
	v_add_u32_e32 v2, 16, v2
	v_cmp_le_i32_e32 vcc, s17, v2
	s_or_b64 s[24:25], vcc, s[24:25]
	v_add_u32_e32 v12, s40, v12
	s_andn2_b64 exec, exec, s[24:25]
	s_cbranch_execz .LBB1_26
.LBB1_10:                               ; =>This Loop Header: Depth=1
                                        ;     Child Loop BB1_14 Depth 2
                                        ;       Child Loop BB1_17 Depth 3
	s_and_b64 vcc, exec, s[4:5]
	v_mov_b32_e32 v14, 0
	s_cbranch_vccnz .LBB1_21
; %bb.11:                               ;   in Loop: Header=BB1_10 Depth=1
	v_ashrrev_i32_e32 v3, 31, v12
	v_mov_b32_e32 v5, s38
	v_add_co_u32_e32 v4, vcc, s39, v12
	v_addc_co_u32_e32 v5, vcc, v5, v3, vcc
	v_ashrrev_i32_e32 v3, 31, v2
	v_mov_b32_e32 v14, 0
	s_mov_b32 s6, s19
	s_branch .LBB1_14
.LBB1_12:                               ;   in Loop: Header=BB1_14 Depth=2
	s_or_b64 exec, exec, s[30:31]
.LBB1_13:                               ;   in Loop: Header=BB1_14 Depth=2
	s_or_b64 exec, exec, s[28:29]
	s_add_i32 s6, s6, 1
	v_mov_b32_e32 v6, s21
	v_add_co_u32_e32 v4, vcc, s33, v4
	s_cmp_ge_i32 s6, s36
	v_addc_co_u32_e32 v5, vcc, v5, v6, vcc
	s_cbranch_scc1 .LBB1_21
.LBB1_14:                               ;   Parent Loop BB1_10 Depth=1
                                        ; =>  This Loop Header: Depth=2
                                        ;       Child Loop BB1_17 Depth 3
	s_and_saveexec_b64 s[28:29], s[0:1]
	s_cbranch_execz .LBB1_13
; %bb.15:                               ;   in Loop: Header=BB1_14 Depth=2
	s_ashr_i32 s7, s6, 31
	s_lshl_b64 s[30:31], s[6:7], 2
	s_add_u32 s30, s12, s30
	s_addc_u32 s31, s13, s31
	s_load_dword s30, s[30:31], 0x0
	s_mul_i32 s31, s21, s6
	v_mov_b32_e32 v6, s6
	s_mul_i32 s7, s33, s7
	s_add_i32 s7, s7, s31
	s_waitcnt lgkmcnt(0)
	s_sub_i32 s34, s30, s16
	v_mad_u64_u32 v[6:7], s[30:31], s33, v6, v[2:3]
	v_add_u32_e32 v7, s7, v7
	s_mul_i32 s7, s34, s17
	s_mov_b64 s[30:31], 0
	v_mov_b32_e32 v15, v13
	v_pk_mov_b32 v[8:9], v[0:1], v[0:1] op_sel:[0,1]
	s_branch .LBB1_17
.LBB1_16:                               ;   in Loop: Header=BB1_17 Depth=3
	v_lshlrev_b64 v[10:11], 2, v[10:11]
	v_mov_b32_e32 v16, s15
	v_add_co_u32_e32 v10, vcc, s14, v10
	v_addc_co_u32_e32 v11, vcc, v16, v11, vcc
	global_load_dword v16, v[10:11], off
	v_add_u32_e32 v10, s7, v8
	v_ashrrev_i32_e32 v11, 31, v10
	v_lshlrev_b64 v[10:11], 2, v[10:11]
	v_mov_b32_e32 v17, s23
	v_add_co_u32_e32 v10, vcc, s22, v10
	v_addc_co_u32_e32 v11, vcc, v17, v11, vcc
	global_load_dword v10, v[10:11], off
	v_add_co_u32_e32 v8, vcc, 16, v8
	v_addc_co_u32_e32 v9, vcc, 0, v9, vcc
	v_cmp_le_i32_e32 vcc, s17, v8
	s_or_b64 s[30:31], vcc, s[30:31]
	v_add_u32_e32 v15, s40, v15
	s_waitcnt vmcnt(0)
	v_fmac_f32_e32 v14, v16, v10
	s_andn2_b64 exec, exec, s[30:31]
	s_cbranch_execz .LBB1_12
.LBB1_17:                               ;   Parent Loop BB1_10 Depth=1
                                        ;     Parent Loop BB1_14 Depth=2
                                        ; =>    This Inner Loop Header: Depth=3
	s_and_b64 vcc, exec, s[10:11]
	s_cbranch_vccz .LBB1_19
; %bb.18:                               ;   in Loop: Header=BB1_17 Depth=3
	v_ashrrev_i32_e32 v11, 31, v15
	v_add_co_u32_e32 v10, vcc, v6, v15
	v_addc_co_u32_e32 v11, vcc, v7, v11, vcc
	s_cbranch_execnz .LBB1_16
	s_branch .LBB1_20
.LBB1_19:                               ;   in Loop: Header=BB1_17 Depth=3
                                        ; implicit-def: $vgpr10_vgpr11
.LBB1_20:                               ;   in Loop: Header=BB1_17 Depth=3
	v_add_co_u32_e32 v10, vcc, v4, v8
	v_addc_co_u32_e32 v11, vcc, v5, v9, vcc
	s_branch .LBB1_16
.LBB1_21:                               ;   in Loop: Header=BB1_10 Depth=1
	s_nop 0
	v_mov_b32_dpp v3, v14 row_shr:1 row_mask:0xf bank_mask:0xf
	v_add_f32_e32 v3, v14, v3
	s_nop 1
	v_mov_b32_dpp v4, v3 row_shr:2 row_mask:0xf bank_mask:0xf
	v_add_f32_e32 v3, v3, v4
	;; [unrolled: 3-line block ×3, first 2 shown]
	s_nop 1
	v_mov_b32_dpp v4, v3 row_shr:8 row_mask:0xf bank_mask:0xc
	s_and_saveexec_b64 s[6:7], s[2:3]
	s_cbranch_execz .LBB1_9
; %bb.22:                               ;   in Loop: Header=BB1_10 Depth=1
	v_add_f32_e32 v3, v3, v4
	v_add_u32_e32 v4, s37, v2
	s_and_b64 vcc, exec, s[26:27]
	v_mul_f32_e32 v3, s18, v3
	v_ashrrev_i32_e32 v5, 31, v4
	s_cbranch_vccz .LBB1_24
; %bb.23:                               ;   in Loop: Header=BB1_10 Depth=1
	v_lshlrev_b64 v[6:7], 2, v[4:5]
	v_mov_b32_e32 v8, s9
	v_add_co_u32_e32 v6, vcc, s8, v6
	v_addc_co_u32_e32 v7, vcc, v8, v7, vcc
	global_store_dword v[6:7], v3, off
	s_cbranch_execnz .LBB1_9
	s_branch .LBB1_25
.LBB1_24:                               ;   in Loop: Header=BB1_10 Depth=1
.LBB1_25:                               ;   in Loop: Header=BB1_10 Depth=1
	v_lshlrev_b64 v[4:5], 2, v[4:5]
	v_mov_b32_e32 v6, s9
	v_add_co_u32_e32 v4, vcc, s8, v4
	v_addc_co_u32_e32 v5, vcc, v6, v5, vcc
	global_load_dword v6, v[4:5], off
	s_waitcnt vmcnt(0)
	v_fmac_f32_e32 v3, s20, v6
	global_store_dword v[4:5], v3, off
	s_branch .LBB1_9
.LBB1_26:
	s_endpgm
	.section	.rodata,"a",@progbits
	.p2align	6, 0x0
	.amdhsa_kernel _ZN9rocsparseL22bsrxmvn_general_kernelILj256ELj16EfiifffEEv20rocsparse_direction_NS_24const_host_device_scalarIT1_EET3_PKS5_PKT2_SA_S7_PKT4_S5_PKT5_S4_PT6_21rocsparse_index_base_b
		.amdhsa_group_segment_fixed_size 0
		.amdhsa_private_segment_fixed_size 0
		.amdhsa_kernarg_size 104
		.amdhsa_user_sgpr_count 6
		.amdhsa_user_sgpr_private_segment_buffer 1
		.amdhsa_user_sgpr_dispatch_ptr 0
		.amdhsa_user_sgpr_queue_ptr 0
		.amdhsa_user_sgpr_kernarg_segment_ptr 1
		.amdhsa_user_sgpr_dispatch_id 0
		.amdhsa_user_sgpr_flat_scratch_init 0
		.amdhsa_user_sgpr_kernarg_preload_length 0
		.amdhsa_user_sgpr_kernarg_preload_offset 0
		.amdhsa_user_sgpr_private_segment_size 0
		.amdhsa_uses_dynamic_stack 0
		.amdhsa_system_sgpr_private_segment_wavefront_offset 0
		.amdhsa_system_sgpr_workgroup_id_x 1
		.amdhsa_system_sgpr_workgroup_id_y 0
		.amdhsa_system_sgpr_workgroup_id_z 0
		.amdhsa_system_sgpr_workgroup_info 0
		.amdhsa_system_vgpr_workitem_id 0
		.amdhsa_next_free_vgpr 18
		.amdhsa_next_free_sgpr 41
		.amdhsa_accum_offset 20
		.amdhsa_reserve_vcc 1
		.amdhsa_reserve_flat_scratch 0
		.amdhsa_float_round_mode_32 0
		.amdhsa_float_round_mode_16_64 0
		.amdhsa_float_denorm_mode_32 3
		.amdhsa_float_denorm_mode_16_64 3
		.amdhsa_dx10_clamp 1
		.amdhsa_ieee_mode 1
		.amdhsa_fp16_overflow 0
		.amdhsa_tg_split 0
		.amdhsa_exception_fp_ieee_invalid_op 0
		.amdhsa_exception_fp_denorm_src 0
		.amdhsa_exception_fp_ieee_div_zero 0
		.amdhsa_exception_fp_ieee_overflow 0
		.amdhsa_exception_fp_ieee_underflow 0
		.amdhsa_exception_fp_ieee_inexact 0
		.amdhsa_exception_int_div_zero 0
	.end_amdhsa_kernel
	.section	.text._ZN9rocsparseL22bsrxmvn_general_kernelILj256ELj16EfiifffEEv20rocsparse_direction_NS_24const_host_device_scalarIT1_EET3_PKS5_PKT2_SA_S7_PKT4_S5_PKT5_S4_PT6_21rocsparse_index_base_b,"axG",@progbits,_ZN9rocsparseL22bsrxmvn_general_kernelILj256ELj16EfiifffEEv20rocsparse_direction_NS_24const_host_device_scalarIT1_EET3_PKS5_PKT2_SA_S7_PKT4_S5_PKT5_S4_PT6_21rocsparse_index_base_b,comdat
.Lfunc_end1:
	.size	_ZN9rocsparseL22bsrxmvn_general_kernelILj256ELj16EfiifffEEv20rocsparse_direction_NS_24const_host_device_scalarIT1_EET3_PKS5_PKT2_SA_S7_PKT4_S5_PKT5_S4_PT6_21rocsparse_index_base_b, .Lfunc_end1-_ZN9rocsparseL22bsrxmvn_general_kernelILj256ELj16EfiifffEEv20rocsparse_direction_NS_24const_host_device_scalarIT1_EET3_PKS5_PKT2_SA_S7_PKT4_S5_PKT5_S4_PT6_21rocsparse_index_base_b
                                        ; -- End function
	.section	.AMDGPU.csdata,"",@progbits
; Kernel info:
; codeLenInByte = 944
; NumSgprs: 45
; NumVgprs: 18
; NumAgprs: 0
; TotalNumVgprs: 18
; ScratchSize: 0
; MemoryBound: 0
; FloatMode: 240
; IeeeMode: 1
; LDSByteSize: 0 bytes/workgroup (compile time only)
; SGPRBlocks: 5
; VGPRBlocks: 2
; NumSGPRsForWavesPerEU: 45
; NumVGPRsForWavesPerEU: 18
; AccumOffset: 20
; Occupancy: 8
; WaveLimiterHint : 1
; COMPUTE_PGM_RSRC2:SCRATCH_EN: 0
; COMPUTE_PGM_RSRC2:USER_SGPR: 6
; COMPUTE_PGM_RSRC2:TRAP_HANDLER: 0
; COMPUTE_PGM_RSRC2:TGID_X_EN: 1
; COMPUTE_PGM_RSRC2:TGID_Y_EN: 0
; COMPUTE_PGM_RSRC2:TGID_Z_EN: 0
; COMPUTE_PGM_RSRC2:TIDIG_COMP_CNT: 0
; COMPUTE_PGM_RSRC3_GFX90A:ACCUM_OFFSET: 4
; COMPUTE_PGM_RSRC3_GFX90A:TG_SPLIT: 0
	.section	.text._ZN9rocsparseL22bsrxmvn_general_kernelILj1024ELj32EfiifffEEv20rocsparse_direction_NS_24const_host_device_scalarIT1_EET3_PKS5_PKT2_SA_S7_PKT4_S5_PKT5_S4_PT6_21rocsparse_index_base_b,"axG",@progbits,_ZN9rocsparseL22bsrxmvn_general_kernelILj1024ELj32EfiifffEEv20rocsparse_direction_NS_24const_host_device_scalarIT1_EET3_PKS5_PKT2_SA_S7_PKT4_S5_PKT5_S4_PT6_21rocsparse_index_base_b,comdat
	.globl	_ZN9rocsparseL22bsrxmvn_general_kernelILj1024ELj32EfiifffEEv20rocsparse_direction_NS_24const_host_device_scalarIT1_EET3_PKS5_PKT2_SA_S7_PKT4_S5_PKT5_S4_PT6_21rocsparse_index_base_b ; -- Begin function _ZN9rocsparseL22bsrxmvn_general_kernelILj1024ELj32EfiifffEEv20rocsparse_direction_NS_24const_host_device_scalarIT1_EET3_PKS5_PKT2_SA_S7_PKT4_S5_PKT5_S4_PT6_21rocsparse_index_base_b
	.p2align	8
	.type	_ZN9rocsparseL22bsrxmvn_general_kernelILj1024ELj32EfiifffEEv20rocsparse_direction_NS_24const_host_device_scalarIT1_EET3_PKS5_PKT2_SA_S7_PKT4_S5_PKT5_S4_PT6_21rocsparse_index_base_b,@function
_ZN9rocsparseL22bsrxmvn_general_kernelILj1024ELj32EfiifffEEv20rocsparse_direction_NS_24const_host_device_scalarIT1_EET3_PKS5_PKT2_SA_S7_PKT4_S5_PKT5_S4_PT6_21rocsparse_index_base_b: ; @_ZN9rocsparseL22bsrxmvn_general_kernelILj1024ELj32EfiifffEEv20rocsparse_direction_NS_24const_host_device_scalarIT1_EET3_PKS5_PKT2_SA_S7_PKT4_S5_PKT5_S4_PT6_21rocsparse_index_base_b
; %bb.0:
	s_load_dwordx2 s[16:17], s[4:5], 0x60
	s_load_dwordx2 s[18:19], s[4:5], 0x8
	;; [unrolled: 1-line block ×3, first 2 shown]
	s_waitcnt lgkmcnt(0)
	s_bitcmp1_b32 s17, 0
	s_cselect_b64 s[2:3], -1, 0
	s_xor_b64 s[0:1], s[2:3], -1
	s_and_b64 vcc, exec, s[2:3]
	s_cbranch_vccnz .LBB2_2
; %bb.1:
	s_load_dword s18, s[18:19], 0x0
.LBB2_2:
	s_andn2_b64 vcc, exec, s[0:1]
	s_cbranch_vccnz .LBB2_4
; %bb.3:
	s_load_dword s20, s[20:21], 0x0
.LBB2_4:
	s_waitcnt lgkmcnt(0)
	v_cmp_neq_f32_e64 s[0:1], s18, 0
	v_cmp_neq_f32_e64 s[2:3], s20, 1.0
	s_or_b64 s[0:1], s[0:1], s[2:3]
	s_andn2_b64 vcc, exec, s[0:1]
	s_cbranch_vccnz .LBB2_26
; %bb.5:
	s_load_dwordx2 s[0:1], s[4:5], 0x18
	s_waitcnt lgkmcnt(0)
	s_cmp_eq_u64 s[0:1], 0
	s_cbranch_scc1 .LBB2_7
; %bb.6:
	s_ashr_i32 s7, s6, 31
	s_lshl_b64 s[2:3], s[6:7], 2
	s_add_u32 s0, s0, s2
	s_addc_u32 s1, s1, s3
	s_load_dword s0, s[0:1], 0x0
	s_waitcnt lgkmcnt(0)
	s_sub_i32 s6, s0, s16
.LBB2_7:
	s_load_dword s17, s[4:5], 0x40
	v_lshrrev_b32_e32 v2, 5, v0
	s_waitcnt lgkmcnt(0)
	v_cmp_gt_i32_e32 vcc, s17, v2
	s_and_saveexec_b64 s[0:1], vcc
	s_cbranch_execz .LBB2_26
; %bb.8:
	s_load_dwordx8 s[8:15], s[4:5], 0x20
	s_ashr_i32 s7, s6, 31
	s_lshl_b64 s[0:1], s[6:7], 2
	s_mul_hi_u32 s21, s17, s17
	s_mul_i32 s33, s17, s17
	s_waitcnt lgkmcnt(0)
	s_add_u32 s2, s8, s0
	s_addc_u32 s3, s9, s1
	s_load_dword s7, s[2:3], 0x0
	s_load_dwordx2 s[8:9], s[4:5], 0x58
	s_load_dwordx2 s[22:23], s[4:5], 0x48
	s_mul_i32 s37, s6, s17
	v_and_b32_e32 v0, 31, v0
	s_waitcnt lgkmcnt(0)
	s_sub_i32 s19, s7, s16
	s_add_u32 s2, s2, 4
	s_addc_u32 s3, s3, 0
	s_add_u32 s0, s10, s0
	s_addc_u32 s1, s11, s1
	s_cmp_eq_u64 s[10:11], 0
	s_cselect_b32 s1, s3, s1
	s_cselect_b32 s0, s2, s0
	s_load_dword s2, s[0:1], 0x0
	s_load_dword s3, s[4:5], 0x0
	s_mul_hi_u32 s28, s19, s33
	v_mov_b32_e32 v3, 0
	s_mov_b64 s[24:25], 0
	s_waitcnt lgkmcnt(0)
	s_sub_i32 s36, s2, s16
	s_cmp_lt_i32 s7, s2
	s_cselect_b64 s[4:5], -1, 0
	s_cmp_lg_u32 s3, 0
	s_cselect_b64 s[10:11], -1, 0
	s_ashr_i32 s6, s19, 31
	s_mul_i32 s7, s19, s21
	s_add_i32 s7, s28, s7
	s_mul_i32 s6, s6, s33
	v_cndmask_b32_e64 v4, 0, 1, s[4:5]
	v_cmp_gt_u32_e64 s[0:1], s17, v0
	v_cmp_eq_u32_e64 s[2:3], 31, v0
	v_cmp_eq_f32_e64 s[26:27], s20, 0
	s_add_i32 s38, s7, s6
	s_mul_i32 s39, s19, s33
	v_mul_lo_u32 v12, s17, v2
	s_lshl_b32 s40, s17, 5
	v_mov_b32_e32 v1, v3
	v_mul_lo_u32 v13, s17, v0
	v_cmp_ne_u32_e64 s[4:5], 1, v4
	s_branch .LBB2_10
.LBB2_9:                                ;   in Loop: Header=BB2_10 Depth=1
	s_or_b64 exec, exec, s[6:7]
	v_add_u32_e32 v2, 32, v2
	v_cmp_le_i32_e32 vcc, s17, v2
	s_or_b64 s[24:25], vcc, s[24:25]
	v_add_u32_e32 v12, s40, v12
	s_andn2_b64 exec, exec, s[24:25]
	s_cbranch_execz .LBB2_26
.LBB2_10:                               ; =>This Loop Header: Depth=1
                                        ;     Child Loop BB2_14 Depth 2
                                        ;       Child Loop BB2_17 Depth 3
	s_and_b64 vcc, exec, s[4:5]
	v_mov_b32_e32 v14, 0
	s_cbranch_vccnz .LBB2_21
; %bb.11:                               ;   in Loop: Header=BB2_10 Depth=1
	v_ashrrev_i32_e32 v5, 31, v12
	v_mov_b32_e32 v6, s38
	v_add_co_u32_e32 v4, vcc, s39, v12
	v_addc_co_u32_e32 v5, vcc, v6, v5, vcc
	v_mov_b32_e32 v14, 0
	s_mov_b32 s6, s19
	s_branch .LBB2_14
.LBB2_12:                               ;   in Loop: Header=BB2_14 Depth=2
	s_or_b64 exec, exec, s[30:31]
.LBB2_13:                               ;   in Loop: Header=BB2_14 Depth=2
	s_or_b64 exec, exec, s[28:29]
	s_add_i32 s6, s6, 1
	v_mov_b32_e32 v6, s21
	v_add_co_u32_e32 v4, vcc, s33, v4
	s_cmp_ge_i32 s6, s36
	v_addc_co_u32_e32 v5, vcc, v5, v6, vcc
	s_cbranch_scc1 .LBB2_21
.LBB2_14:                               ;   Parent Loop BB2_10 Depth=1
                                        ; =>  This Loop Header: Depth=2
                                        ;       Child Loop BB2_17 Depth 3
	s_and_saveexec_b64 s[28:29], s[0:1]
	s_cbranch_execz .LBB2_13
; %bb.15:                               ;   in Loop: Header=BB2_14 Depth=2
	s_ashr_i32 s7, s6, 31
	s_lshl_b64 s[30:31], s[6:7], 2
	s_add_u32 s30, s12, s30
	s_addc_u32 s31, s13, s31
	s_load_dword s30, s[30:31], 0x0
	s_mul_i32 s31, s21, s6
	v_mov_b32_e32 v6, s6
	s_mul_i32 s7, s33, s7
	s_add_i32 s7, s7, s31
	s_waitcnt lgkmcnt(0)
	s_sub_i32 s34, s30, s16
	v_mad_u64_u32 v[6:7], s[30:31], s33, v6, v[2:3]
	v_add_u32_e32 v7, s7, v7
	s_mul_i32 s7, s34, s17
	s_mov_b64 s[30:31], 0
	v_mov_b32_e32 v15, v13
	v_pk_mov_b32 v[8:9], v[0:1], v[0:1] op_sel:[0,1]
	s_branch .LBB2_17
.LBB2_16:                               ;   in Loop: Header=BB2_17 Depth=3
	v_lshlrev_b64 v[10:11], 2, v[10:11]
	v_mov_b32_e32 v16, s15
	v_add_co_u32_e32 v10, vcc, s14, v10
	v_addc_co_u32_e32 v11, vcc, v16, v11, vcc
	global_load_dword v16, v[10:11], off
	v_add_u32_e32 v10, s7, v8
	v_ashrrev_i32_e32 v11, 31, v10
	v_lshlrev_b64 v[10:11], 2, v[10:11]
	v_mov_b32_e32 v17, s23
	v_add_co_u32_e32 v10, vcc, s22, v10
	v_addc_co_u32_e32 v11, vcc, v17, v11, vcc
	global_load_dword v10, v[10:11], off
	v_add_co_u32_e32 v8, vcc, 32, v8
	v_addc_co_u32_e32 v9, vcc, 0, v9, vcc
	v_cmp_le_i32_e32 vcc, s17, v8
	s_or_b64 s[30:31], vcc, s[30:31]
	v_add_u32_e32 v15, s40, v15
	s_waitcnt vmcnt(0)
	v_fmac_f32_e32 v14, v16, v10
	s_andn2_b64 exec, exec, s[30:31]
	s_cbranch_execz .LBB2_12
.LBB2_17:                               ;   Parent Loop BB2_10 Depth=1
                                        ;     Parent Loop BB2_14 Depth=2
                                        ; =>    This Inner Loop Header: Depth=3
	s_and_b64 vcc, exec, s[10:11]
	s_cbranch_vccz .LBB2_19
; %bb.18:                               ;   in Loop: Header=BB2_17 Depth=3
	v_ashrrev_i32_e32 v11, 31, v15
	v_add_co_u32_e32 v10, vcc, v6, v15
	v_addc_co_u32_e32 v11, vcc, v7, v11, vcc
	s_cbranch_execnz .LBB2_16
	s_branch .LBB2_20
.LBB2_19:                               ;   in Loop: Header=BB2_17 Depth=3
                                        ; implicit-def: $vgpr10_vgpr11
.LBB2_20:                               ;   in Loop: Header=BB2_17 Depth=3
	v_add_co_u32_e32 v10, vcc, v4, v8
	v_addc_co_u32_e32 v11, vcc, v5, v9, vcc
	s_branch .LBB2_16
.LBB2_21:                               ;   in Loop: Header=BB2_10 Depth=1
	s_nop 0
	v_mov_b32_dpp v4, v14 row_shr:1 row_mask:0xf bank_mask:0xf
	v_add_f32_e32 v4, v14, v4
	s_nop 1
	v_mov_b32_dpp v5, v4 row_shr:2 row_mask:0xf bank_mask:0xf
	v_add_f32_e32 v4, v4, v5
	;; [unrolled: 3-line block ×4, first 2 shown]
	s_nop 1
	v_mov_b32_dpp v5, v4 row_bcast:15 row_mask:0xa bank_mask:0xf
	s_and_saveexec_b64 s[6:7], s[2:3]
	s_cbranch_execz .LBB2_9
; %bb.22:                               ;   in Loop: Header=BB2_10 Depth=1
	v_add_f32_e32 v4, v4, v5
	v_mul_f32_e32 v6, s18, v4
	v_add_u32_e32 v4, s37, v2
	s_and_b64 vcc, exec, s[26:27]
	v_ashrrev_i32_e32 v5, 31, v4
	s_cbranch_vccz .LBB2_24
; %bb.23:                               ;   in Loop: Header=BB2_10 Depth=1
	v_lshlrev_b64 v[8:9], 2, v[4:5]
	v_mov_b32_e32 v7, s9
	v_add_co_u32_e32 v8, vcc, s8, v8
	v_addc_co_u32_e32 v9, vcc, v7, v9, vcc
	global_store_dword v[8:9], v6, off
	s_cbranch_execnz .LBB2_9
	s_branch .LBB2_25
.LBB2_24:                               ;   in Loop: Header=BB2_10 Depth=1
.LBB2_25:                               ;   in Loop: Header=BB2_10 Depth=1
	v_lshlrev_b64 v[4:5], 2, v[4:5]
	v_mov_b32_e32 v7, s9
	v_add_co_u32_e32 v4, vcc, s8, v4
	v_addc_co_u32_e32 v5, vcc, v7, v5, vcc
	global_load_dword v7, v[4:5], off
	s_waitcnt vmcnt(0)
	v_fmac_f32_e32 v6, s20, v7
	global_store_dword v[4:5], v6, off
	s_branch .LBB2_9
.LBB2_26:
	s_endpgm
	.section	.rodata,"a",@progbits
	.p2align	6, 0x0
	.amdhsa_kernel _ZN9rocsparseL22bsrxmvn_general_kernelILj1024ELj32EfiifffEEv20rocsparse_direction_NS_24const_host_device_scalarIT1_EET3_PKS5_PKT2_SA_S7_PKT4_S5_PKT5_S4_PT6_21rocsparse_index_base_b
		.amdhsa_group_segment_fixed_size 0
		.amdhsa_private_segment_fixed_size 0
		.amdhsa_kernarg_size 104
		.amdhsa_user_sgpr_count 6
		.amdhsa_user_sgpr_private_segment_buffer 1
		.amdhsa_user_sgpr_dispatch_ptr 0
		.amdhsa_user_sgpr_queue_ptr 0
		.amdhsa_user_sgpr_kernarg_segment_ptr 1
		.amdhsa_user_sgpr_dispatch_id 0
		.amdhsa_user_sgpr_flat_scratch_init 0
		.amdhsa_user_sgpr_kernarg_preload_length 0
		.amdhsa_user_sgpr_kernarg_preload_offset 0
		.amdhsa_user_sgpr_private_segment_size 0
		.amdhsa_uses_dynamic_stack 0
		.amdhsa_system_sgpr_private_segment_wavefront_offset 0
		.amdhsa_system_sgpr_workgroup_id_x 1
		.amdhsa_system_sgpr_workgroup_id_y 0
		.amdhsa_system_sgpr_workgroup_id_z 0
		.amdhsa_system_sgpr_workgroup_info 0
		.amdhsa_system_vgpr_workitem_id 0
		.amdhsa_next_free_vgpr 18
		.amdhsa_next_free_sgpr 41
		.amdhsa_accum_offset 20
		.amdhsa_reserve_vcc 1
		.amdhsa_reserve_flat_scratch 0
		.amdhsa_float_round_mode_32 0
		.amdhsa_float_round_mode_16_64 0
		.amdhsa_float_denorm_mode_32 3
		.amdhsa_float_denorm_mode_16_64 3
		.amdhsa_dx10_clamp 1
		.amdhsa_ieee_mode 1
		.amdhsa_fp16_overflow 0
		.amdhsa_tg_split 0
		.amdhsa_exception_fp_ieee_invalid_op 0
		.amdhsa_exception_fp_denorm_src 0
		.amdhsa_exception_fp_ieee_div_zero 0
		.amdhsa_exception_fp_ieee_overflow 0
		.amdhsa_exception_fp_ieee_underflow 0
		.amdhsa_exception_fp_ieee_inexact 0
		.amdhsa_exception_int_div_zero 0
	.end_amdhsa_kernel
	.section	.text._ZN9rocsparseL22bsrxmvn_general_kernelILj1024ELj32EfiifffEEv20rocsparse_direction_NS_24const_host_device_scalarIT1_EET3_PKS5_PKT2_SA_S7_PKT4_S5_PKT5_S4_PT6_21rocsparse_index_base_b,"axG",@progbits,_ZN9rocsparseL22bsrxmvn_general_kernelILj1024ELj32EfiifffEEv20rocsparse_direction_NS_24const_host_device_scalarIT1_EET3_PKS5_PKT2_SA_S7_PKT4_S5_PKT5_S4_PT6_21rocsparse_index_base_b,comdat
.Lfunc_end2:
	.size	_ZN9rocsparseL22bsrxmvn_general_kernelILj1024ELj32EfiifffEEv20rocsparse_direction_NS_24const_host_device_scalarIT1_EET3_PKS5_PKT2_SA_S7_PKT4_S5_PKT5_S4_PT6_21rocsparse_index_base_b, .Lfunc_end2-_ZN9rocsparseL22bsrxmvn_general_kernelILj1024ELj32EfiifffEEv20rocsparse_direction_NS_24const_host_device_scalarIT1_EET3_PKS5_PKT2_SA_S7_PKT4_S5_PKT5_S4_PT6_21rocsparse_index_base_b
                                        ; -- End function
	.section	.AMDGPU.csdata,"",@progbits
; Kernel info:
; codeLenInByte = 960
; NumSgprs: 45
; NumVgprs: 18
; NumAgprs: 0
; TotalNumVgprs: 18
; ScratchSize: 0
; MemoryBound: 0
; FloatMode: 240
; IeeeMode: 1
; LDSByteSize: 0 bytes/workgroup (compile time only)
; SGPRBlocks: 5
; VGPRBlocks: 2
; NumSGPRsForWavesPerEU: 45
; NumVGPRsForWavesPerEU: 18
; AccumOffset: 20
; Occupancy: 8
; WaveLimiterHint : 1
; COMPUTE_PGM_RSRC2:SCRATCH_EN: 0
; COMPUTE_PGM_RSRC2:USER_SGPR: 6
; COMPUTE_PGM_RSRC2:TRAP_HANDLER: 0
; COMPUTE_PGM_RSRC2:TGID_X_EN: 1
; COMPUTE_PGM_RSRC2:TGID_Y_EN: 0
; COMPUTE_PGM_RSRC2:TGID_Z_EN: 0
; COMPUTE_PGM_RSRC2:TIDIG_COMP_CNT: 0
; COMPUTE_PGM_RSRC3_GFX90A:ACCUM_OFFSET: 4
; COMPUTE_PGM_RSRC3_GFX90A:TG_SPLIT: 0
	.section	.text._ZN9rocsparseL22bsrxmvn_general_kernelILj64ELj8EdiidddEEv20rocsparse_direction_NS_24const_host_device_scalarIT1_EET3_PKS5_PKT2_SA_S7_PKT4_S5_PKT5_S4_PT6_21rocsparse_index_base_b,"axG",@progbits,_ZN9rocsparseL22bsrxmvn_general_kernelILj64ELj8EdiidddEEv20rocsparse_direction_NS_24const_host_device_scalarIT1_EET3_PKS5_PKT2_SA_S7_PKT4_S5_PKT5_S4_PT6_21rocsparse_index_base_b,comdat
	.globl	_ZN9rocsparseL22bsrxmvn_general_kernelILj64ELj8EdiidddEEv20rocsparse_direction_NS_24const_host_device_scalarIT1_EET3_PKS5_PKT2_SA_S7_PKT4_S5_PKT5_S4_PT6_21rocsparse_index_base_b ; -- Begin function _ZN9rocsparseL22bsrxmvn_general_kernelILj64ELj8EdiidddEEv20rocsparse_direction_NS_24const_host_device_scalarIT1_EET3_PKS5_PKT2_SA_S7_PKT4_S5_PKT5_S4_PT6_21rocsparse_index_base_b
	.p2align	8
	.type	_ZN9rocsparseL22bsrxmvn_general_kernelILj64ELj8EdiidddEEv20rocsparse_direction_NS_24const_host_device_scalarIT1_EET3_PKS5_PKT2_SA_S7_PKT4_S5_PKT5_S4_PT6_21rocsparse_index_base_b,@function
_ZN9rocsparseL22bsrxmvn_general_kernelILj64ELj8EdiidddEEv20rocsparse_direction_NS_24const_host_device_scalarIT1_EET3_PKS5_PKT2_SA_S7_PKT4_S5_PKT5_S4_PT6_21rocsparse_index_base_b: ; @_ZN9rocsparseL22bsrxmvn_general_kernelILj64ELj8EdiidddEEv20rocsparse_direction_NS_24const_host_device_scalarIT1_EET3_PKS5_PKT2_SA_S7_PKT4_S5_PKT5_S4_PT6_21rocsparse_index_base_b
; %bb.0:
	s_load_dwordx2 s[16:17], s[4:5], 0x60
	s_load_dwordx2 s[8:9], s[4:5], 0x8
	;; [unrolled: 1-line block ×3, first 2 shown]
	s_waitcnt lgkmcnt(0)
	s_bitcmp1_b32 s17, 0
	s_cselect_b64 s[10:11], -1, 0
	s_xor_b64 s[2:3], s[10:11], -1
	s_and_b64 vcc, exec, s[10:11]
	v_pk_mov_b32 v[2:3], s[8:9], s[8:9] op_sel:[0,1]
	s_cbranch_vccnz .LBB3_2
; %bb.1:
	v_pk_mov_b32 v[2:3], s[8:9], s[8:9] op_sel:[0,1]
	flat_load_dwordx2 v[2:3], v[2:3]
.LBB3_2:
	s_andn2_b64 vcc, exec, s[2:3]
	v_pk_mov_b32 v[4:5], s[0:1], s[0:1] op_sel:[0,1]
	s_cbranch_vccnz .LBB3_4
; %bb.3:
	v_pk_mov_b32 v[4:5], s[0:1], s[0:1] op_sel:[0,1]
	flat_load_dwordx2 v[4:5], v[4:5]
.LBB3_4:
	s_waitcnt vmcnt(0) lgkmcnt(0)
	v_cmp_neq_f64_e32 vcc, 0, v[2:3]
	v_cmp_neq_f64_e64 s[0:1], 1.0, v[4:5]
	s_or_b64 s[0:1], vcc, s[0:1]
	s_and_saveexec_b64 s[2:3], s[0:1]
	s_cbranch_execz .LBB3_26
; %bb.5:
	s_load_dwordx2 s[0:1], s[4:5], 0x18
	s_waitcnt lgkmcnt(0)
	s_cmp_eq_u64 s[0:1], 0
	s_cbranch_scc1 .LBB3_7
; %bb.6:
	s_ashr_i32 s7, s6, 31
	s_lshl_b64 s[2:3], s[6:7], 2
	s_add_u32 s0, s0, s2
	s_addc_u32 s1, s1, s3
	s_load_dword s0, s[0:1], 0x0
	s_waitcnt lgkmcnt(0)
	s_sub_i32 s6, s0, s16
.LBB3_7:
	s_load_dword s17, s[4:5], 0x40
	v_lshrrev_b32_e32 v6, 3, v0
	s_waitcnt lgkmcnt(0)
	v_cmp_gt_i32_e32 vcc, s17, v6
	s_and_b64 exec, exec, vcc
	s_cbranch_execz .LBB3_26
; %bb.8:
	s_load_dwordx8 s[8:15], s[4:5], 0x20
	s_ashr_i32 s7, s6, 31
	s_lshl_b64 s[0:1], s[6:7], 2
	s_mul_hi_u32 s31, s17, s17
	s_mul_i32 s33, s17, s17
	s_waitcnt lgkmcnt(0)
	s_add_u32 s2, s8, s0
	s_addc_u32 s3, s9, s1
	s_load_dword s7, s[2:3], 0x0
	s_load_dwordx2 s[8:9], s[4:5], 0x58
	s_load_dwordx2 s[18:19], s[4:5], 0x48
	s_mul_i32 s35, s6, s17
	v_and_b32_e32 v0, 7, v0
	s_waitcnt lgkmcnt(0)
	s_sub_i32 s30, s7, s16
	s_add_u32 s2, s2, 4
	s_addc_u32 s3, s3, 0
	s_add_u32 s0, s10, s0
	s_addc_u32 s1, s11, s1
	s_cmp_eq_u64 s[10:11], 0
	s_cselect_b32 s1, s3, s1
	s_cselect_b32 s0, s2, s0
	s_load_dword s2, s[0:1], 0x0
	s_load_dword s3, s[4:5], 0x0
	s_mul_hi_u32 s24, s30, s33
	s_mov_b64 s[20:21], 0
	v_cmp_gt_u32_e64 s[0:1], s17, v0
	s_waitcnt lgkmcnt(0)
	s_sub_i32 s34, s2, s16
	s_cmp_lt_i32 s7, s2
	s_cselect_b64 s[22:23], -1, 0
	s_cmp_lg_u32 s3, 0
	s_cselect_b64 s[10:11], -1, 0
	s_ashr_i32 s6, s30, 31
	s_mul_i32 s7, s30, s31
	s_add_i32 s7, s24, s7
	s_mul_i32 s6, s6, s33
	v_cndmask_b32_e64 v7, 0, 1, s[22:23]
	v_cmp_eq_u32_e64 s[2:3], 7, v0
	v_cmp_eq_f64_e64 s[4:5], 0, v[4:5]
	s_add_i32 s36, s7, s6
	s_mul_i32 s37, s30, s33
	v_mul_lo_u32 v18, s17, v6
	s_lshl_b32 s38, s17, 3
	v_mov_b32_e32 v1, 0
	v_mul_lo_u32 v19, s17, v0
	v_cmp_ne_u32_e64 s[6:7], 1, v7
	s_branch .LBB3_10
.LBB3_9:                                ;   in Loop: Header=BB3_10 Depth=1
	s_or_b64 exec, exec, s[22:23]
	v_add_u32_e32 v6, 8, v6
	v_cmp_le_i32_e32 vcc, s17, v6
	s_or_b64 s[20:21], vcc, s[20:21]
	v_add_u32_e32 v18, s38, v18
	s_andn2_b64 exec, exec, s[20:21]
	s_cbranch_execz .LBB3_26
.LBB3_10:                               ; =>This Loop Header: Depth=1
                                        ;     Child Loop BB3_14 Depth 2
                                        ;       Child Loop BB3_17 Depth 3
	s_and_b64 vcc, exec, s[6:7]
	v_pk_mov_b32 v[8:9], 0, 0
	s_cbranch_vccnz .LBB3_21
; %bb.11:                               ;   in Loop: Header=BB3_10 Depth=1
	v_ashrrev_i32_e32 v7, 31, v18
	v_mov_b32_e32 v8, s36
	v_add_co_u32_e32 v10, vcc, s37, v18
	v_addc_co_u32_e32 v11, vcc, v8, v7, vcc
	v_ashrrev_i32_e32 v7, 31, v6
	v_pk_mov_b32 v[8:9], 0, 0
	s_mov_b32 s22, s30
	s_branch .LBB3_14
.LBB3_12:                               ;   in Loop: Header=BB3_14 Depth=2
	s_or_b64 exec, exec, s[26:27]
.LBB3_13:                               ;   in Loop: Header=BB3_14 Depth=2
	s_or_b64 exec, exec, s[24:25]
	s_add_i32 s22, s22, 1
	v_mov_b32_e32 v12, s31
	v_add_co_u32_e32 v10, vcc, s33, v10
	s_cmp_ge_i32 s22, s34
	v_addc_co_u32_e32 v11, vcc, v11, v12, vcc
	s_cbranch_scc1 .LBB3_21
.LBB3_14:                               ;   Parent Loop BB3_10 Depth=1
                                        ; =>  This Loop Header: Depth=2
                                        ;       Child Loop BB3_17 Depth 3
	s_and_saveexec_b64 s[24:25], s[0:1]
	s_cbranch_execz .LBB3_13
; %bb.15:                               ;   in Loop: Header=BB3_14 Depth=2
	s_ashr_i32 s23, s22, 31
	s_lshl_b64 s[26:27], s[22:23], 2
	s_add_u32 s26, s12, s26
	s_addc_u32 s27, s13, s27
	s_load_dword s26, s[26:27], 0x0
	s_mul_i32 s27, s31, s22
	v_mov_b32_e32 v12, s22
	s_mul_i32 s23, s33, s23
	s_add_i32 s23, s23, s27
	s_waitcnt lgkmcnt(0)
	s_sub_i32 s28, s26, s16
	v_mad_u64_u32 v[12:13], s[26:27], s33, v12, v[6:7]
	v_add_u32_e32 v13, s23, v13
	s_mul_i32 s23, s28, s17
	s_mov_b64 s[26:27], 0
	v_mov_b32_e32 v20, v19
	v_pk_mov_b32 v[14:15], v[0:1], v[0:1] op_sel:[0,1]
	s_branch .LBB3_17
.LBB3_16:                               ;   in Loop: Header=BB3_17 Depth=3
	v_lshlrev_b64 v[16:17], 3, v[16:17]
	v_add_u32_e32 v22, s23, v14
	v_mov_b32_e32 v21, s15
	v_add_co_u32_e32 v16, vcc, s14, v16
	v_ashrrev_i32_e32 v23, 31, v22
	v_addc_co_u32_e32 v17, vcc, v21, v17, vcc
	v_lshlrev_b64 v[22:23], 3, v[22:23]
	v_mov_b32_e32 v21, s19
	v_add_co_u32_e32 v22, vcc, s18, v22
	v_addc_co_u32_e32 v23, vcc, v21, v23, vcc
	global_load_dwordx2 v[16:17], v[16:17], off
	v_add_co_u32_e32 v14, vcc, 8, v14
	global_load_dwordx2 v[22:23], v[22:23], off
	v_addc_co_u32_e32 v15, vcc, 0, v15, vcc
	v_cmp_le_i32_e32 vcc, s17, v14
	s_or_b64 s[26:27], vcc, s[26:27]
	v_add_u32_e32 v20, s38, v20
	s_waitcnt vmcnt(0)
	v_fmac_f64_e32 v[8:9], v[16:17], v[22:23]
	s_andn2_b64 exec, exec, s[26:27]
	s_cbranch_execz .LBB3_12
.LBB3_17:                               ;   Parent Loop BB3_10 Depth=1
                                        ;     Parent Loop BB3_14 Depth=2
                                        ; =>    This Inner Loop Header: Depth=3
	s_and_b64 vcc, exec, s[10:11]
	s_cbranch_vccz .LBB3_19
; %bb.18:                               ;   in Loop: Header=BB3_17 Depth=3
	v_ashrrev_i32_e32 v17, 31, v20
	v_add_co_u32_e32 v16, vcc, v12, v20
	v_addc_co_u32_e32 v17, vcc, v13, v17, vcc
	s_cbranch_execnz .LBB3_16
	s_branch .LBB3_20
.LBB3_19:                               ;   in Loop: Header=BB3_17 Depth=3
                                        ; implicit-def: $vgpr16_vgpr17
.LBB3_20:                               ;   in Loop: Header=BB3_17 Depth=3
	v_add_co_u32_e32 v16, vcc, v10, v14
	v_addc_co_u32_e32 v17, vcc, v11, v15, vcc
	s_branch .LBB3_16
.LBB3_21:                               ;   in Loop: Header=BB3_10 Depth=1
	s_nop 0
	v_mov_b32_dpp v10, v8 row_shr:1 row_mask:0xf bank_mask:0xf
	v_mov_b32_dpp v11, v9 row_shr:1 row_mask:0xf bank_mask:0xf
	v_add_f64 v[8:9], v[8:9], v[10:11]
	s_nop 1
	v_mov_b32_dpp v10, v8 row_shr:2 row_mask:0xf bank_mask:0xf
	v_mov_b32_dpp v11, v9 row_shr:2 row_mask:0xf bank_mask:0xf
	v_add_f64 v[8:9], v[8:9], v[10:11]
	s_nop 1
	v_mov_b32_dpp v10, v8 row_shr:4 row_mask:0xf bank_mask:0xe
	v_mov_b32_dpp v11, v9 row_shr:4 row_mask:0xf bank_mask:0xe
	s_and_saveexec_b64 s[22:23], s[2:3]
	s_cbranch_execz .LBB3_9
; %bb.22:                               ;   in Loop: Header=BB3_10 Depth=1
	v_add_f64 v[8:9], v[8:9], v[10:11]
	v_add_u32_e32 v10, s35, v6
	v_mul_f64 v[8:9], v[2:3], v[8:9]
	v_ashrrev_i32_e32 v11, 31, v10
	s_and_saveexec_b64 s[24:25], s[4:5]
	s_xor_b64 s[24:25], exec, s[24:25]
	s_cbranch_execz .LBB3_24
; %bb.23:                               ;   in Loop: Header=BB3_10 Depth=1
	v_lshlrev_b64 v[10:11], 3, v[10:11]
	v_mov_b32_e32 v7, s9
	v_add_co_u32_e32 v10, vcc, s8, v10
	v_addc_co_u32_e32 v11, vcc, v7, v11, vcc
	global_store_dwordx2 v[10:11], v[8:9], off
                                        ; implicit-def: $vgpr10
                                        ; implicit-def: $vgpr8_vgpr9
.LBB3_24:                               ;   in Loop: Header=BB3_10 Depth=1
	s_andn2_saveexec_b64 s[24:25], s[24:25]
	s_cbranch_execz .LBB3_9
; %bb.25:                               ;   in Loop: Header=BB3_10 Depth=1
	v_lshlrev_b64 v[10:11], 3, v[10:11]
	v_mov_b32_e32 v7, s9
	v_add_co_u32_e32 v10, vcc, s8, v10
	v_addc_co_u32_e32 v11, vcc, v7, v11, vcc
	global_load_dwordx2 v[12:13], v[10:11], off
	s_waitcnt vmcnt(0)
	v_fmac_f64_e32 v[8:9], v[4:5], v[12:13]
	global_store_dwordx2 v[10:11], v[8:9], off
	s_branch .LBB3_9
.LBB3_26:
	s_endpgm
	.section	.rodata,"a",@progbits
	.p2align	6, 0x0
	.amdhsa_kernel _ZN9rocsparseL22bsrxmvn_general_kernelILj64ELj8EdiidddEEv20rocsparse_direction_NS_24const_host_device_scalarIT1_EET3_PKS5_PKT2_SA_S7_PKT4_S5_PKT5_S4_PT6_21rocsparse_index_base_b
		.amdhsa_group_segment_fixed_size 0
		.amdhsa_private_segment_fixed_size 0
		.amdhsa_kernarg_size 104
		.amdhsa_user_sgpr_count 6
		.amdhsa_user_sgpr_private_segment_buffer 1
		.amdhsa_user_sgpr_dispatch_ptr 0
		.amdhsa_user_sgpr_queue_ptr 0
		.amdhsa_user_sgpr_kernarg_segment_ptr 1
		.amdhsa_user_sgpr_dispatch_id 0
		.amdhsa_user_sgpr_flat_scratch_init 0
		.amdhsa_user_sgpr_kernarg_preload_length 0
		.amdhsa_user_sgpr_kernarg_preload_offset 0
		.amdhsa_user_sgpr_private_segment_size 0
		.amdhsa_uses_dynamic_stack 0
		.amdhsa_system_sgpr_private_segment_wavefront_offset 0
		.amdhsa_system_sgpr_workgroup_id_x 1
		.amdhsa_system_sgpr_workgroup_id_y 0
		.amdhsa_system_sgpr_workgroup_id_z 0
		.amdhsa_system_sgpr_workgroup_info 0
		.amdhsa_system_vgpr_workitem_id 0
		.amdhsa_next_free_vgpr 24
		.amdhsa_next_free_sgpr 39
		.amdhsa_accum_offset 24
		.amdhsa_reserve_vcc 1
		.amdhsa_reserve_flat_scratch 0
		.amdhsa_float_round_mode_32 0
		.amdhsa_float_round_mode_16_64 0
		.amdhsa_float_denorm_mode_32 3
		.amdhsa_float_denorm_mode_16_64 3
		.amdhsa_dx10_clamp 1
		.amdhsa_ieee_mode 1
		.amdhsa_fp16_overflow 0
		.amdhsa_tg_split 0
		.amdhsa_exception_fp_ieee_invalid_op 0
		.amdhsa_exception_fp_denorm_src 0
		.amdhsa_exception_fp_ieee_div_zero 0
		.amdhsa_exception_fp_ieee_overflow 0
		.amdhsa_exception_fp_ieee_underflow 0
		.amdhsa_exception_fp_ieee_inexact 0
		.amdhsa_exception_int_div_zero 0
	.end_amdhsa_kernel
	.section	.text._ZN9rocsparseL22bsrxmvn_general_kernelILj64ELj8EdiidddEEv20rocsparse_direction_NS_24const_host_device_scalarIT1_EET3_PKS5_PKT2_SA_S7_PKT4_S5_PKT5_S4_PT6_21rocsparse_index_base_b,"axG",@progbits,_ZN9rocsparseL22bsrxmvn_general_kernelILj64ELj8EdiidddEEv20rocsparse_direction_NS_24const_host_device_scalarIT1_EET3_PKS5_PKT2_SA_S7_PKT4_S5_PKT5_S4_PT6_21rocsparse_index_base_b,comdat
.Lfunc_end3:
	.size	_ZN9rocsparseL22bsrxmvn_general_kernelILj64ELj8EdiidddEEv20rocsparse_direction_NS_24const_host_device_scalarIT1_EET3_PKS5_PKT2_SA_S7_PKT4_S5_PKT5_S4_PT6_21rocsparse_index_base_b, .Lfunc_end3-_ZN9rocsparseL22bsrxmvn_general_kernelILj64ELj8EdiidddEEv20rocsparse_direction_NS_24const_host_device_scalarIT1_EET3_PKS5_PKT2_SA_S7_PKT4_S5_PKT5_S4_PT6_21rocsparse_index_base_b
                                        ; -- End function
	.section	.AMDGPU.csdata,"",@progbits
; Kernel info:
; codeLenInByte = 1008
; NumSgprs: 43
; NumVgprs: 24
; NumAgprs: 0
; TotalNumVgprs: 24
; ScratchSize: 0
; MemoryBound: 0
; FloatMode: 240
; IeeeMode: 1
; LDSByteSize: 0 bytes/workgroup (compile time only)
; SGPRBlocks: 5
; VGPRBlocks: 2
; NumSGPRsForWavesPerEU: 43
; NumVGPRsForWavesPerEU: 24
; AccumOffset: 24
; Occupancy: 8
; WaveLimiterHint : 1
; COMPUTE_PGM_RSRC2:SCRATCH_EN: 0
; COMPUTE_PGM_RSRC2:USER_SGPR: 6
; COMPUTE_PGM_RSRC2:TRAP_HANDLER: 0
; COMPUTE_PGM_RSRC2:TGID_X_EN: 1
; COMPUTE_PGM_RSRC2:TGID_Y_EN: 0
; COMPUTE_PGM_RSRC2:TGID_Z_EN: 0
; COMPUTE_PGM_RSRC2:TIDIG_COMP_CNT: 0
; COMPUTE_PGM_RSRC3_GFX90A:ACCUM_OFFSET: 5
; COMPUTE_PGM_RSRC3_GFX90A:TG_SPLIT: 0
	.section	.text._ZN9rocsparseL22bsrxmvn_general_kernelILj256ELj16EdiidddEEv20rocsparse_direction_NS_24const_host_device_scalarIT1_EET3_PKS5_PKT2_SA_S7_PKT4_S5_PKT5_S4_PT6_21rocsparse_index_base_b,"axG",@progbits,_ZN9rocsparseL22bsrxmvn_general_kernelILj256ELj16EdiidddEEv20rocsparse_direction_NS_24const_host_device_scalarIT1_EET3_PKS5_PKT2_SA_S7_PKT4_S5_PKT5_S4_PT6_21rocsparse_index_base_b,comdat
	.globl	_ZN9rocsparseL22bsrxmvn_general_kernelILj256ELj16EdiidddEEv20rocsparse_direction_NS_24const_host_device_scalarIT1_EET3_PKS5_PKT2_SA_S7_PKT4_S5_PKT5_S4_PT6_21rocsparse_index_base_b ; -- Begin function _ZN9rocsparseL22bsrxmvn_general_kernelILj256ELj16EdiidddEEv20rocsparse_direction_NS_24const_host_device_scalarIT1_EET3_PKS5_PKT2_SA_S7_PKT4_S5_PKT5_S4_PT6_21rocsparse_index_base_b
	.p2align	8
	.type	_ZN9rocsparseL22bsrxmvn_general_kernelILj256ELj16EdiidddEEv20rocsparse_direction_NS_24const_host_device_scalarIT1_EET3_PKS5_PKT2_SA_S7_PKT4_S5_PKT5_S4_PT6_21rocsparse_index_base_b,@function
_ZN9rocsparseL22bsrxmvn_general_kernelILj256ELj16EdiidddEEv20rocsparse_direction_NS_24const_host_device_scalarIT1_EET3_PKS5_PKT2_SA_S7_PKT4_S5_PKT5_S4_PT6_21rocsparse_index_base_b: ; @_ZN9rocsparseL22bsrxmvn_general_kernelILj256ELj16EdiidddEEv20rocsparse_direction_NS_24const_host_device_scalarIT1_EET3_PKS5_PKT2_SA_S7_PKT4_S5_PKT5_S4_PT6_21rocsparse_index_base_b
; %bb.0:
	s_load_dwordx2 s[16:17], s[4:5], 0x60
	s_load_dwordx2 s[8:9], s[4:5], 0x8
	;; [unrolled: 1-line block ×3, first 2 shown]
	s_waitcnt lgkmcnt(0)
	s_bitcmp1_b32 s17, 0
	s_cselect_b64 s[10:11], -1, 0
	s_xor_b64 s[2:3], s[10:11], -1
	s_and_b64 vcc, exec, s[10:11]
	v_pk_mov_b32 v[2:3], s[8:9], s[8:9] op_sel:[0,1]
	s_cbranch_vccnz .LBB4_2
; %bb.1:
	v_pk_mov_b32 v[2:3], s[8:9], s[8:9] op_sel:[0,1]
	flat_load_dwordx2 v[2:3], v[2:3]
.LBB4_2:
	s_andn2_b64 vcc, exec, s[2:3]
	v_pk_mov_b32 v[4:5], s[0:1], s[0:1] op_sel:[0,1]
	s_cbranch_vccnz .LBB4_4
; %bb.3:
	v_pk_mov_b32 v[4:5], s[0:1], s[0:1] op_sel:[0,1]
	flat_load_dwordx2 v[4:5], v[4:5]
.LBB4_4:
	s_waitcnt vmcnt(0) lgkmcnt(0)
	v_cmp_neq_f64_e32 vcc, 0, v[2:3]
	v_cmp_neq_f64_e64 s[0:1], 1.0, v[4:5]
	s_or_b64 s[0:1], vcc, s[0:1]
	s_and_saveexec_b64 s[2:3], s[0:1]
	s_cbranch_execz .LBB4_26
; %bb.5:
	s_load_dwordx2 s[0:1], s[4:5], 0x18
	s_waitcnt lgkmcnt(0)
	s_cmp_eq_u64 s[0:1], 0
	s_cbranch_scc1 .LBB4_7
; %bb.6:
	s_ashr_i32 s7, s6, 31
	s_lshl_b64 s[2:3], s[6:7], 2
	s_add_u32 s0, s0, s2
	s_addc_u32 s1, s1, s3
	s_load_dword s0, s[0:1], 0x0
	s_waitcnt lgkmcnt(0)
	s_sub_i32 s6, s0, s16
.LBB4_7:
	s_load_dword s17, s[4:5], 0x40
	v_lshrrev_b32_e32 v6, 4, v0
	s_waitcnt lgkmcnt(0)
	v_cmp_gt_i32_e32 vcc, s17, v6
	s_and_b64 exec, exec, vcc
	s_cbranch_execz .LBB4_26
; %bb.8:
	s_load_dwordx8 s[8:15], s[4:5], 0x20
	s_ashr_i32 s7, s6, 31
	s_lshl_b64 s[0:1], s[6:7], 2
	s_mul_hi_u32 s31, s17, s17
	s_mul_i32 s33, s17, s17
	s_waitcnt lgkmcnt(0)
	s_add_u32 s2, s8, s0
	s_addc_u32 s3, s9, s1
	s_load_dword s7, s[2:3], 0x0
	s_load_dwordx2 s[8:9], s[4:5], 0x58
	s_load_dwordx2 s[18:19], s[4:5], 0x48
	s_mul_i32 s35, s6, s17
	v_and_b32_e32 v0, 15, v0
	s_waitcnt lgkmcnt(0)
	s_sub_i32 s30, s7, s16
	s_add_u32 s2, s2, 4
	s_addc_u32 s3, s3, 0
	s_add_u32 s0, s10, s0
	s_addc_u32 s1, s11, s1
	s_cmp_eq_u64 s[10:11], 0
	s_cselect_b32 s1, s3, s1
	s_cselect_b32 s0, s2, s0
	s_load_dword s2, s[0:1], 0x0
	s_load_dword s3, s[4:5], 0x0
	s_mul_hi_u32 s24, s30, s33
	s_mov_b64 s[20:21], 0
	v_cmp_gt_u32_e64 s[0:1], s17, v0
	s_waitcnt lgkmcnt(0)
	s_sub_i32 s34, s2, s16
	s_cmp_lt_i32 s7, s2
	s_cselect_b64 s[22:23], -1, 0
	s_cmp_lg_u32 s3, 0
	s_cselect_b64 s[10:11], -1, 0
	s_ashr_i32 s6, s30, 31
	s_mul_i32 s7, s30, s31
	s_add_i32 s7, s24, s7
	s_mul_i32 s6, s6, s33
	v_cndmask_b32_e64 v7, 0, 1, s[22:23]
	v_cmp_eq_u32_e64 s[2:3], 15, v0
	v_cmp_eq_f64_e64 s[4:5], 0, v[4:5]
	s_add_i32 s36, s7, s6
	s_mul_i32 s37, s30, s33
	v_mul_lo_u32 v18, s17, v6
	s_lshl_b32 s38, s17, 4
	v_mov_b32_e32 v1, 0
	v_mul_lo_u32 v19, s17, v0
	v_cmp_ne_u32_e64 s[6:7], 1, v7
	s_branch .LBB4_10
.LBB4_9:                                ;   in Loop: Header=BB4_10 Depth=1
	s_or_b64 exec, exec, s[22:23]
	v_add_u32_e32 v6, 16, v6
	v_cmp_le_i32_e32 vcc, s17, v6
	s_or_b64 s[20:21], vcc, s[20:21]
	v_add_u32_e32 v18, s38, v18
	s_andn2_b64 exec, exec, s[20:21]
	s_cbranch_execz .LBB4_26
.LBB4_10:                               ; =>This Loop Header: Depth=1
                                        ;     Child Loop BB4_14 Depth 2
                                        ;       Child Loop BB4_17 Depth 3
	s_and_b64 vcc, exec, s[6:7]
	v_pk_mov_b32 v[8:9], 0, 0
	s_cbranch_vccnz .LBB4_21
; %bb.11:                               ;   in Loop: Header=BB4_10 Depth=1
	v_ashrrev_i32_e32 v7, 31, v18
	v_mov_b32_e32 v8, s36
	v_add_co_u32_e32 v10, vcc, s37, v18
	v_addc_co_u32_e32 v11, vcc, v8, v7, vcc
	v_ashrrev_i32_e32 v7, 31, v6
	v_pk_mov_b32 v[8:9], 0, 0
	s_mov_b32 s22, s30
	s_branch .LBB4_14
.LBB4_12:                               ;   in Loop: Header=BB4_14 Depth=2
	s_or_b64 exec, exec, s[26:27]
.LBB4_13:                               ;   in Loop: Header=BB4_14 Depth=2
	s_or_b64 exec, exec, s[24:25]
	s_add_i32 s22, s22, 1
	v_mov_b32_e32 v12, s31
	v_add_co_u32_e32 v10, vcc, s33, v10
	s_cmp_ge_i32 s22, s34
	v_addc_co_u32_e32 v11, vcc, v11, v12, vcc
	s_cbranch_scc1 .LBB4_21
.LBB4_14:                               ;   Parent Loop BB4_10 Depth=1
                                        ; =>  This Loop Header: Depth=2
                                        ;       Child Loop BB4_17 Depth 3
	s_and_saveexec_b64 s[24:25], s[0:1]
	s_cbranch_execz .LBB4_13
; %bb.15:                               ;   in Loop: Header=BB4_14 Depth=2
	s_ashr_i32 s23, s22, 31
	s_lshl_b64 s[26:27], s[22:23], 2
	s_add_u32 s26, s12, s26
	s_addc_u32 s27, s13, s27
	s_load_dword s26, s[26:27], 0x0
	s_mul_i32 s27, s31, s22
	v_mov_b32_e32 v12, s22
	s_mul_i32 s23, s33, s23
	s_add_i32 s23, s23, s27
	s_waitcnt lgkmcnt(0)
	s_sub_i32 s28, s26, s16
	v_mad_u64_u32 v[12:13], s[26:27], s33, v12, v[6:7]
	v_add_u32_e32 v13, s23, v13
	s_mul_i32 s23, s28, s17
	s_mov_b64 s[26:27], 0
	v_mov_b32_e32 v20, v19
	v_pk_mov_b32 v[14:15], v[0:1], v[0:1] op_sel:[0,1]
	s_branch .LBB4_17
.LBB4_16:                               ;   in Loop: Header=BB4_17 Depth=3
	v_lshlrev_b64 v[16:17], 3, v[16:17]
	v_add_u32_e32 v22, s23, v14
	v_mov_b32_e32 v21, s15
	v_add_co_u32_e32 v16, vcc, s14, v16
	v_ashrrev_i32_e32 v23, 31, v22
	v_addc_co_u32_e32 v17, vcc, v21, v17, vcc
	v_lshlrev_b64 v[22:23], 3, v[22:23]
	v_mov_b32_e32 v21, s19
	v_add_co_u32_e32 v22, vcc, s18, v22
	v_addc_co_u32_e32 v23, vcc, v21, v23, vcc
	global_load_dwordx2 v[16:17], v[16:17], off
	v_add_co_u32_e32 v14, vcc, 16, v14
	global_load_dwordx2 v[22:23], v[22:23], off
	v_addc_co_u32_e32 v15, vcc, 0, v15, vcc
	v_cmp_le_i32_e32 vcc, s17, v14
	s_or_b64 s[26:27], vcc, s[26:27]
	v_add_u32_e32 v20, s38, v20
	s_waitcnt vmcnt(0)
	v_fmac_f64_e32 v[8:9], v[16:17], v[22:23]
	s_andn2_b64 exec, exec, s[26:27]
	s_cbranch_execz .LBB4_12
.LBB4_17:                               ;   Parent Loop BB4_10 Depth=1
                                        ;     Parent Loop BB4_14 Depth=2
                                        ; =>    This Inner Loop Header: Depth=3
	s_and_b64 vcc, exec, s[10:11]
	s_cbranch_vccz .LBB4_19
; %bb.18:                               ;   in Loop: Header=BB4_17 Depth=3
	v_ashrrev_i32_e32 v17, 31, v20
	v_add_co_u32_e32 v16, vcc, v12, v20
	v_addc_co_u32_e32 v17, vcc, v13, v17, vcc
	s_cbranch_execnz .LBB4_16
	s_branch .LBB4_20
.LBB4_19:                               ;   in Loop: Header=BB4_17 Depth=3
                                        ; implicit-def: $vgpr16_vgpr17
.LBB4_20:                               ;   in Loop: Header=BB4_17 Depth=3
	v_add_co_u32_e32 v16, vcc, v10, v14
	v_addc_co_u32_e32 v17, vcc, v11, v15, vcc
	s_branch .LBB4_16
.LBB4_21:                               ;   in Loop: Header=BB4_10 Depth=1
	s_nop 0
	v_mov_b32_dpp v10, v8 row_shr:1 row_mask:0xf bank_mask:0xf
	v_mov_b32_dpp v11, v9 row_shr:1 row_mask:0xf bank_mask:0xf
	v_add_f64 v[8:9], v[8:9], v[10:11]
	s_nop 1
	v_mov_b32_dpp v10, v8 row_shr:2 row_mask:0xf bank_mask:0xf
	v_mov_b32_dpp v11, v9 row_shr:2 row_mask:0xf bank_mask:0xf
	v_add_f64 v[8:9], v[8:9], v[10:11]
	;; [unrolled: 4-line block ×3, first 2 shown]
	s_nop 1
	v_mov_b32_dpp v10, v8 row_shr:8 row_mask:0xf bank_mask:0xc
	v_mov_b32_dpp v11, v9 row_shr:8 row_mask:0xf bank_mask:0xc
	s_and_saveexec_b64 s[22:23], s[2:3]
	s_cbranch_execz .LBB4_9
; %bb.22:                               ;   in Loop: Header=BB4_10 Depth=1
	v_add_f64 v[8:9], v[8:9], v[10:11]
	v_add_u32_e32 v10, s35, v6
	v_mul_f64 v[8:9], v[2:3], v[8:9]
	v_ashrrev_i32_e32 v11, 31, v10
	s_and_saveexec_b64 s[24:25], s[4:5]
	s_xor_b64 s[24:25], exec, s[24:25]
	s_cbranch_execz .LBB4_24
; %bb.23:                               ;   in Loop: Header=BB4_10 Depth=1
	v_lshlrev_b64 v[10:11], 3, v[10:11]
	v_mov_b32_e32 v7, s9
	v_add_co_u32_e32 v10, vcc, s8, v10
	v_addc_co_u32_e32 v11, vcc, v7, v11, vcc
	global_store_dwordx2 v[10:11], v[8:9], off
                                        ; implicit-def: $vgpr10
                                        ; implicit-def: $vgpr8_vgpr9
.LBB4_24:                               ;   in Loop: Header=BB4_10 Depth=1
	s_andn2_saveexec_b64 s[24:25], s[24:25]
	s_cbranch_execz .LBB4_9
; %bb.25:                               ;   in Loop: Header=BB4_10 Depth=1
	v_lshlrev_b64 v[10:11], 3, v[10:11]
	v_mov_b32_e32 v7, s9
	v_add_co_u32_e32 v10, vcc, s8, v10
	v_addc_co_u32_e32 v11, vcc, v7, v11, vcc
	global_load_dwordx2 v[12:13], v[10:11], off
	s_waitcnt vmcnt(0)
	v_fmac_f64_e32 v[8:9], v[4:5], v[12:13]
	global_store_dwordx2 v[10:11], v[8:9], off
	s_branch .LBB4_9
.LBB4_26:
	s_endpgm
	.section	.rodata,"a",@progbits
	.p2align	6, 0x0
	.amdhsa_kernel _ZN9rocsparseL22bsrxmvn_general_kernelILj256ELj16EdiidddEEv20rocsparse_direction_NS_24const_host_device_scalarIT1_EET3_PKS5_PKT2_SA_S7_PKT4_S5_PKT5_S4_PT6_21rocsparse_index_base_b
		.amdhsa_group_segment_fixed_size 0
		.amdhsa_private_segment_fixed_size 0
		.amdhsa_kernarg_size 104
		.amdhsa_user_sgpr_count 6
		.amdhsa_user_sgpr_private_segment_buffer 1
		.amdhsa_user_sgpr_dispatch_ptr 0
		.amdhsa_user_sgpr_queue_ptr 0
		.amdhsa_user_sgpr_kernarg_segment_ptr 1
		.amdhsa_user_sgpr_dispatch_id 0
		.amdhsa_user_sgpr_flat_scratch_init 0
		.amdhsa_user_sgpr_kernarg_preload_length 0
		.amdhsa_user_sgpr_kernarg_preload_offset 0
		.amdhsa_user_sgpr_private_segment_size 0
		.amdhsa_uses_dynamic_stack 0
		.amdhsa_system_sgpr_private_segment_wavefront_offset 0
		.amdhsa_system_sgpr_workgroup_id_x 1
		.amdhsa_system_sgpr_workgroup_id_y 0
		.amdhsa_system_sgpr_workgroup_id_z 0
		.amdhsa_system_sgpr_workgroup_info 0
		.amdhsa_system_vgpr_workitem_id 0
		.amdhsa_next_free_vgpr 24
		.amdhsa_next_free_sgpr 39
		.amdhsa_accum_offset 24
		.amdhsa_reserve_vcc 1
		.amdhsa_reserve_flat_scratch 0
		.amdhsa_float_round_mode_32 0
		.amdhsa_float_round_mode_16_64 0
		.amdhsa_float_denorm_mode_32 3
		.amdhsa_float_denorm_mode_16_64 3
		.amdhsa_dx10_clamp 1
		.amdhsa_ieee_mode 1
		.amdhsa_fp16_overflow 0
		.amdhsa_tg_split 0
		.amdhsa_exception_fp_ieee_invalid_op 0
		.amdhsa_exception_fp_denorm_src 0
		.amdhsa_exception_fp_ieee_div_zero 0
		.amdhsa_exception_fp_ieee_overflow 0
		.amdhsa_exception_fp_ieee_underflow 0
		.amdhsa_exception_fp_ieee_inexact 0
		.amdhsa_exception_int_div_zero 0
	.end_amdhsa_kernel
	.section	.text._ZN9rocsparseL22bsrxmvn_general_kernelILj256ELj16EdiidddEEv20rocsparse_direction_NS_24const_host_device_scalarIT1_EET3_PKS5_PKT2_SA_S7_PKT4_S5_PKT5_S4_PT6_21rocsparse_index_base_b,"axG",@progbits,_ZN9rocsparseL22bsrxmvn_general_kernelILj256ELj16EdiidddEEv20rocsparse_direction_NS_24const_host_device_scalarIT1_EET3_PKS5_PKT2_SA_S7_PKT4_S5_PKT5_S4_PT6_21rocsparse_index_base_b,comdat
.Lfunc_end4:
	.size	_ZN9rocsparseL22bsrxmvn_general_kernelILj256ELj16EdiidddEEv20rocsparse_direction_NS_24const_host_device_scalarIT1_EET3_PKS5_PKT2_SA_S7_PKT4_S5_PKT5_S4_PT6_21rocsparse_index_base_b, .Lfunc_end4-_ZN9rocsparseL22bsrxmvn_general_kernelILj256ELj16EdiidddEEv20rocsparse_direction_NS_24const_host_device_scalarIT1_EET3_PKS5_PKT2_SA_S7_PKT4_S5_PKT5_S4_PT6_21rocsparse_index_base_b
                                        ; -- End function
	.section	.AMDGPU.csdata,"",@progbits
; Kernel info:
; codeLenInByte = 1036
; NumSgprs: 43
; NumVgprs: 24
; NumAgprs: 0
; TotalNumVgprs: 24
; ScratchSize: 0
; MemoryBound: 0
; FloatMode: 240
; IeeeMode: 1
; LDSByteSize: 0 bytes/workgroup (compile time only)
; SGPRBlocks: 5
; VGPRBlocks: 2
; NumSGPRsForWavesPerEU: 43
; NumVGPRsForWavesPerEU: 24
; AccumOffset: 24
; Occupancy: 8
; WaveLimiterHint : 1
; COMPUTE_PGM_RSRC2:SCRATCH_EN: 0
; COMPUTE_PGM_RSRC2:USER_SGPR: 6
; COMPUTE_PGM_RSRC2:TRAP_HANDLER: 0
; COMPUTE_PGM_RSRC2:TGID_X_EN: 1
; COMPUTE_PGM_RSRC2:TGID_Y_EN: 0
; COMPUTE_PGM_RSRC2:TGID_Z_EN: 0
; COMPUTE_PGM_RSRC2:TIDIG_COMP_CNT: 0
; COMPUTE_PGM_RSRC3_GFX90A:ACCUM_OFFSET: 5
; COMPUTE_PGM_RSRC3_GFX90A:TG_SPLIT: 0
	.section	.text._ZN9rocsparseL22bsrxmvn_general_kernelILj1024ELj32EdiidddEEv20rocsparse_direction_NS_24const_host_device_scalarIT1_EET3_PKS5_PKT2_SA_S7_PKT4_S5_PKT5_S4_PT6_21rocsparse_index_base_b,"axG",@progbits,_ZN9rocsparseL22bsrxmvn_general_kernelILj1024ELj32EdiidddEEv20rocsparse_direction_NS_24const_host_device_scalarIT1_EET3_PKS5_PKT2_SA_S7_PKT4_S5_PKT5_S4_PT6_21rocsparse_index_base_b,comdat
	.globl	_ZN9rocsparseL22bsrxmvn_general_kernelILj1024ELj32EdiidddEEv20rocsparse_direction_NS_24const_host_device_scalarIT1_EET3_PKS5_PKT2_SA_S7_PKT4_S5_PKT5_S4_PT6_21rocsparse_index_base_b ; -- Begin function _ZN9rocsparseL22bsrxmvn_general_kernelILj1024ELj32EdiidddEEv20rocsparse_direction_NS_24const_host_device_scalarIT1_EET3_PKS5_PKT2_SA_S7_PKT4_S5_PKT5_S4_PT6_21rocsparse_index_base_b
	.p2align	8
	.type	_ZN9rocsparseL22bsrxmvn_general_kernelILj1024ELj32EdiidddEEv20rocsparse_direction_NS_24const_host_device_scalarIT1_EET3_PKS5_PKT2_SA_S7_PKT4_S5_PKT5_S4_PT6_21rocsparse_index_base_b,@function
_ZN9rocsparseL22bsrxmvn_general_kernelILj1024ELj32EdiidddEEv20rocsparse_direction_NS_24const_host_device_scalarIT1_EET3_PKS5_PKT2_SA_S7_PKT4_S5_PKT5_S4_PT6_21rocsparse_index_base_b: ; @_ZN9rocsparseL22bsrxmvn_general_kernelILj1024ELj32EdiidddEEv20rocsparse_direction_NS_24const_host_device_scalarIT1_EET3_PKS5_PKT2_SA_S7_PKT4_S5_PKT5_S4_PT6_21rocsparse_index_base_b
; %bb.0:
	s_load_dwordx2 s[16:17], s[4:5], 0x60
	s_load_dwordx2 s[8:9], s[4:5], 0x8
	;; [unrolled: 1-line block ×3, first 2 shown]
	s_waitcnt lgkmcnt(0)
	s_bitcmp1_b32 s17, 0
	s_cselect_b64 s[10:11], -1, 0
	s_xor_b64 s[2:3], s[10:11], -1
	s_and_b64 vcc, exec, s[10:11]
	v_pk_mov_b32 v[2:3], s[8:9], s[8:9] op_sel:[0,1]
	s_cbranch_vccnz .LBB5_2
; %bb.1:
	v_pk_mov_b32 v[2:3], s[8:9], s[8:9] op_sel:[0,1]
	flat_load_dwordx2 v[2:3], v[2:3]
.LBB5_2:
	s_andn2_b64 vcc, exec, s[2:3]
	v_pk_mov_b32 v[4:5], s[0:1], s[0:1] op_sel:[0,1]
	s_cbranch_vccnz .LBB5_4
; %bb.3:
	v_pk_mov_b32 v[4:5], s[0:1], s[0:1] op_sel:[0,1]
	flat_load_dwordx2 v[4:5], v[4:5]
.LBB5_4:
	s_waitcnt vmcnt(0) lgkmcnt(0)
	v_cmp_neq_f64_e32 vcc, 0, v[2:3]
	v_cmp_neq_f64_e64 s[0:1], 1.0, v[4:5]
	s_or_b64 s[0:1], vcc, s[0:1]
	s_and_saveexec_b64 s[2:3], s[0:1]
	s_cbranch_execz .LBB5_26
; %bb.5:
	s_load_dwordx2 s[0:1], s[4:5], 0x18
	s_waitcnt lgkmcnt(0)
	s_cmp_eq_u64 s[0:1], 0
	s_cbranch_scc1 .LBB5_7
; %bb.6:
	s_ashr_i32 s7, s6, 31
	s_lshl_b64 s[2:3], s[6:7], 2
	s_add_u32 s0, s0, s2
	s_addc_u32 s1, s1, s3
	s_load_dword s0, s[0:1], 0x0
	s_waitcnt lgkmcnt(0)
	s_sub_i32 s6, s0, s16
.LBB5_7:
	s_load_dword s17, s[4:5], 0x40
	v_lshrrev_b32_e32 v6, 5, v0
	s_waitcnt lgkmcnt(0)
	v_cmp_gt_i32_e32 vcc, s17, v6
	s_and_b64 exec, exec, vcc
	s_cbranch_execz .LBB5_26
; %bb.8:
	s_load_dwordx8 s[8:15], s[4:5], 0x20
	s_ashr_i32 s7, s6, 31
	s_lshl_b64 s[0:1], s[6:7], 2
	s_mul_hi_u32 s31, s17, s17
	s_mul_i32 s33, s17, s17
	s_waitcnt lgkmcnt(0)
	s_add_u32 s2, s8, s0
	s_addc_u32 s3, s9, s1
	s_load_dword s7, s[2:3], 0x0
	s_load_dwordx2 s[8:9], s[4:5], 0x58
	s_load_dwordx2 s[18:19], s[4:5], 0x48
	s_mul_i32 s35, s6, s17
	v_and_b32_e32 v0, 31, v0
	s_waitcnt lgkmcnt(0)
	s_sub_i32 s30, s7, s16
	s_add_u32 s2, s2, 4
	s_addc_u32 s3, s3, 0
	s_add_u32 s0, s10, s0
	s_addc_u32 s1, s11, s1
	s_cmp_eq_u64 s[10:11], 0
	s_cselect_b32 s1, s3, s1
	s_cselect_b32 s0, s2, s0
	s_load_dword s2, s[0:1], 0x0
	s_load_dword s3, s[4:5], 0x0
	s_mul_hi_u32 s24, s30, s33
	v_mov_b32_e32 v7, 0
	s_mov_b64 s[20:21], 0
	s_waitcnt lgkmcnt(0)
	s_sub_i32 s34, s2, s16
	s_cmp_lt_i32 s7, s2
	s_cselect_b64 s[22:23], -1, 0
	s_cmp_lg_u32 s3, 0
	s_cselect_b64 s[10:11], -1, 0
	s_ashr_i32 s6, s30, 31
	s_mul_i32 s7, s30, s31
	s_add_i32 s7, s24, s7
	s_mul_i32 s6, s6, s33
	v_cndmask_b32_e64 v8, 0, 1, s[22:23]
	v_cmp_gt_u32_e64 s[0:1], s17, v0
	v_cmp_eq_u32_e64 s[2:3], 31, v0
	v_cmp_eq_f64_e64 s[4:5], 0, v[4:5]
	s_add_i32 s36, s7, s6
	s_mul_i32 s37, s30, s33
	v_mul_lo_u32 v18, s17, v6
	s_lshl_b32 s38, s17, 5
	v_mov_b32_e32 v1, v7
	v_mul_lo_u32 v19, s17, v0
	v_cmp_ne_u32_e64 s[6:7], 1, v8
	s_branch .LBB5_10
.LBB5_9:                                ;   in Loop: Header=BB5_10 Depth=1
	s_or_b64 exec, exec, s[22:23]
	v_add_u32_e32 v6, 32, v6
	v_cmp_le_i32_e32 vcc, s17, v6
	s_or_b64 s[20:21], vcc, s[20:21]
	v_add_u32_e32 v18, s38, v18
	s_andn2_b64 exec, exec, s[20:21]
	s_cbranch_execz .LBB5_26
.LBB5_10:                               ; =>This Loop Header: Depth=1
                                        ;     Child Loop BB5_14 Depth 2
                                        ;       Child Loop BB5_17 Depth 3
	s_and_b64 vcc, exec, s[6:7]
	v_pk_mov_b32 v[8:9], 0, 0
	s_cbranch_vccnz .LBB5_21
; %bb.11:                               ;   in Loop: Header=BB5_10 Depth=1
	v_ashrrev_i32_e32 v8, 31, v18
	v_mov_b32_e32 v9, s36
	v_add_co_u32_e32 v10, vcc, s37, v18
	v_addc_co_u32_e32 v11, vcc, v9, v8, vcc
	v_pk_mov_b32 v[8:9], 0, 0
	s_mov_b32 s22, s30
	s_branch .LBB5_14
.LBB5_12:                               ;   in Loop: Header=BB5_14 Depth=2
	s_or_b64 exec, exec, s[26:27]
.LBB5_13:                               ;   in Loop: Header=BB5_14 Depth=2
	s_or_b64 exec, exec, s[24:25]
	s_add_i32 s22, s22, 1
	v_mov_b32_e32 v12, s31
	v_add_co_u32_e32 v10, vcc, s33, v10
	s_cmp_ge_i32 s22, s34
	v_addc_co_u32_e32 v11, vcc, v11, v12, vcc
	s_cbranch_scc1 .LBB5_21
.LBB5_14:                               ;   Parent Loop BB5_10 Depth=1
                                        ; =>  This Loop Header: Depth=2
                                        ;       Child Loop BB5_17 Depth 3
	s_and_saveexec_b64 s[24:25], s[0:1]
	s_cbranch_execz .LBB5_13
; %bb.15:                               ;   in Loop: Header=BB5_14 Depth=2
	s_ashr_i32 s23, s22, 31
	s_lshl_b64 s[26:27], s[22:23], 2
	s_add_u32 s26, s12, s26
	s_addc_u32 s27, s13, s27
	s_load_dword s26, s[26:27], 0x0
	s_mul_i32 s27, s31, s22
	v_mov_b32_e32 v12, s22
	s_mul_i32 s23, s33, s23
	s_add_i32 s23, s23, s27
	s_waitcnt lgkmcnt(0)
	s_sub_i32 s28, s26, s16
	v_mad_u64_u32 v[12:13], s[26:27], s33, v12, v[6:7]
	v_add_u32_e32 v13, s23, v13
	s_mul_i32 s23, s28, s17
	s_mov_b64 s[26:27], 0
	v_mov_b32_e32 v20, v19
	v_pk_mov_b32 v[14:15], v[0:1], v[0:1] op_sel:[0,1]
	s_branch .LBB5_17
.LBB5_16:                               ;   in Loop: Header=BB5_17 Depth=3
	v_lshlrev_b64 v[16:17], 3, v[16:17]
	v_add_u32_e32 v22, s23, v14
	v_mov_b32_e32 v21, s15
	v_add_co_u32_e32 v16, vcc, s14, v16
	v_ashrrev_i32_e32 v23, 31, v22
	v_addc_co_u32_e32 v17, vcc, v21, v17, vcc
	v_lshlrev_b64 v[22:23], 3, v[22:23]
	v_mov_b32_e32 v21, s19
	v_add_co_u32_e32 v22, vcc, s18, v22
	v_addc_co_u32_e32 v23, vcc, v21, v23, vcc
	global_load_dwordx2 v[16:17], v[16:17], off
	v_add_co_u32_e32 v14, vcc, 32, v14
	global_load_dwordx2 v[22:23], v[22:23], off
	v_addc_co_u32_e32 v15, vcc, 0, v15, vcc
	v_cmp_le_i32_e32 vcc, s17, v14
	s_or_b64 s[26:27], vcc, s[26:27]
	v_add_u32_e32 v20, s38, v20
	s_waitcnt vmcnt(0)
	v_fmac_f64_e32 v[8:9], v[16:17], v[22:23]
	s_andn2_b64 exec, exec, s[26:27]
	s_cbranch_execz .LBB5_12
.LBB5_17:                               ;   Parent Loop BB5_10 Depth=1
                                        ;     Parent Loop BB5_14 Depth=2
                                        ; =>    This Inner Loop Header: Depth=3
	s_and_b64 vcc, exec, s[10:11]
	s_cbranch_vccz .LBB5_19
; %bb.18:                               ;   in Loop: Header=BB5_17 Depth=3
	v_ashrrev_i32_e32 v17, 31, v20
	v_add_co_u32_e32 v16, vcc, v12, v20
	v_addc_co_u32_e32 v17, vcc, v13, v17, vcc
	s_cbranch_execnz .LBB5_16
	s_branch .LBB5_20
.LBB5_19:                               ;   in Loop: Header=BB5_17 Depth=3
                                        ; implicit-def: $vgpr16_vgpr17
.LBB5_20:                               ;   in Loop: Header=BB5_17 Depth=3
	v_add_co_u32_e32 v16, vcc, v10, v14
	v_addc_co_u32_e32 v17, vcc, v11, v15, vcc
	s_branch .LBB5_16
.LBB5_21:                               ;   in Loop: Header=BB5_10 Depth=1
	s_nop 0
	v_mov_b32_dpp v10, v8 row_shr:1 row_mask:0xf bank_mask:0xf
	v_mov_b32_dpp v11, v9 row_shr:1 row_mask:0xf bank_mask:0xf
	v_add_f64 v[8:9], v[8:9], v[10:11]
	s_nop 1
	v_mov_b32_dpp v10, v8 row_shr:2 row_mask:0xf bank_mask:0xf
	v_mov_b32_dpp v11, v9 row_shr:2 row_mask:0xf bank_mask:0xf
	v_add_f64 v[8:9], v[8:9], v[10:11]
	;; [unrolled: 4-line block ×4, first 2 shown]
	s_nop 1
	v_mov_b32_dpp v10, v8 row_bcast:15 row_mask:0xa bank_mask:0xf
	v_mov_b32_dpp v11, v9 row_bcast:15 row_mask:0xa bank_mask:0xf
	s_and_saveexec_b64 s[22:23], s[2:3]
	s_cbranch_execz .LBB5_9
; %bb.22:                               ;   in Loop: Header=BB5_10 Depth=1
	v_add_f64 v[8:9], v[8:9], v[10:11]
	v_add_u32_e32 v10, s35, v6
	v_mul_f64 v[8:9], v[2:3], v[8:9]
	v_ashrrev_i32_e32 v11, 31, v10
	s_and_saveexec_b64 s[24:25], s[4:5]
	s_xor_b64 s[24:25], exec, s[24:25]
	s_cbranch_execz .LBB5_24
; %bb.23:                               ;   in Loop: Header=BB5_10 Depth=1
	v_lshlrev_b64 v[10:11], 3, v[10:11]
	v_mov_b32_e32 v12, s9
	v_add_co_u32_e32 v10, vcc, s8, v10
	v_addc_co_u32_e32 v11, vcc, v12, v11, vcc
	global_store_dwordx2 v[10:11], v[8:9], off
                                        ; implicit-def: $vgpr10
                                        ; implicit-def: $vgpr8_vgpr9
.LBB5_24:                               ;   in Loop: Header=BB5_10 Depth=1
	s_andn2_saveexec_b64 s[24:25], s[24:25]
	s_cbranch_execz .LBB5_9
; %bb.25:                               ;   in Loop: Header=BB5_10 Depth=1
	v_lshlrev_b64 v[10:11], 3, v[10:11]
	v_mov_b32_e32 v12, s9
	v_add_co_u32_e32 v10, vcc, s8, v10
	v_addc_co_u32_e32 v11, vcc, v12, v11, vcc
	global_load_dwordx2 v[12:13], v[10:11], off
	s_waitcnt vmcnt(0)
	v_fmac_f64_e32 v[8:9], v[4:5], v[12:13]
	global_store_dwordx2 v[10:11], v[8:9], off
	s_branch .LBB5_9
.LBB5_26:
	s_endpgm
	.section	.rodata,"a",@progbits
	.p2align	6, 0x0
	.amdhsa_kernel _ZN9rocsparseL22bsrxmvn_general_kernelILj1024ELj32EdiidddEEv20rocsparse_direction_NS_24const_host_device_scalarIT1_EET3_PKS5_PKT2_SA_S7_PKT4_S5_PKT5_S4_PT6_21rocsparse_index_base_b
		.amdhsa_group_segment_fixed_size 0
		.amdhsa_private_segment_fixed_size 0
		.amdhsa_kernarg_size 104
		.amdhsa_user_sgpr_count 6
		.amdhsa_user_sgpr_private_segment_buffer 1
		.amdhsa_user_sgpr_dispatch_ptr 0
		.amdhsa_user_sgpr_queue_ptr 0
		.amdhsa_user_sgpr_kernarg_segment_ptr 1
		.amdhsa_user_sgpr_dispatch_id 0
		.amdhsa_user_sgpr_flat_scratch_init 0
		.amdhsa_user_sgpr_kernarg_preload_length 0
		.amdhsa_user_sgpr_kernarg_preload_offset 0
		.amdhsa_user_sgpr_private_segment_size 0
		.amdhsa_uses_dynamic_stack 0
		.amdhsa_system_sgpr_private_segment_wavefront_offset 0
		.amdhsa_system_sgpr_workgroup_id_x 1
		.amdhsa_system_sgpr_workgroup_id_y 0
		.amdhsa_system_sgpr_workgroup_id_z 0
		.amdhsa_system_sgpr_workgroup_info 0
		.amdhsa_system_vgpr_workitem_id 0
		.amdhsa_next_free_vgpr 24
		.amdhsa_next_free_sgpr 39
		.amdhsa_accum_offset 24
		.amdhsa_reserve_vcc 1
		.amdhsa_reserve_flat_scratch 0
		.amdhsa_float_round_mode_32 0
		.amdhsa_float_round_mode_16_64 0
		.amdhsa_float_denorm_mode_32 3
		.amdhsa_float_denorm_mode_16_64 3
		.amdhsa_dx10_clamp 1
		.amdhsa_ieee_mode 1
		.amdhsa_fp16_overflow 0
		.amdhsa_tg_split 0
		.amdhsa_exception_fp_ieee_invalid_op 0
		.amdhsa_exception_fp_denorm_src 0
		.amdhsa_exception_fp_ieee_div_zero 0
		.amdhsa_exception_fp_ieee_overflow 0
		.amdhsa_exception_fp_ieee_underflow 0
		.amdhsa_exception_fp_ieee_inexact 0
		.amdhsa_exception_int_div_zero 0
	.end_amdhsa_kernel
	.section	.text._ZN9rocsparseL22bsrxmvn_general_kernelILj1024ELj32EdiidddEEv20rocsparse_direction_NS_24const_host_device_scalarIT1_EET3_PKS5_PKT2_SA_S7_PKT4_S5_PKT5_S4_PT6_21rocsparse_index_base_b,"axG",@progbits,_ZN9rocsparseL22bsrxmvn_general_kernelILj1024ELj32EdiidddEEv20rocsparse_direction_NS_24const_host_device_scalarIT1_EET3_PKS5_PKT2_SA_S7_PKT4_S5_PKT5_S4_PT6_21rocsparse_index_base_b,comdat
.Lfunc_end5:
	.size	_ZN9rocsparseL22bsrxmvn_general_kernelILj1024ELj32EdiidddEEv20rocsparse_direction_NS_24const_host_device_scalarIT1_EET3_PKS5_PKT2_SA_S7_PKT4_S5_PKT5_S4_PT6_21rocsparse_index_base_b, .Lfunc_end5-_ZN9rocsparseL22bsrxmvn_general_kernelILj1024ELj32EdiidddEEv20rocsparse_direction_NS_24const_host_device_scalarIT1_EET3_PKS5_PKT2_SA_S7_PKT4_S5_PKT5_S4_PT6_21rocsparse_index_base_b
                                        ; -- End function
	.section	.AMDGPU.csdata,"",@progbits
; Kernel info:
; codeLenInByte = 1064
; NumSgprs: 43
; NumVgprs: 24
; NumAgprs: 0
; TotalNumVgprs: 24
; ScratchSize: 0
; MemoryBound: 0
; FloatMode: 240
; IeeeMode: 1
; LDSByteSize: 0 bytes/workgroup (compile time only)
; SGPRBlocks: 5
; VGPRBlocks: 2
; NumSGPRsForWavesPerEU: 43
; NumVGPRsForWavesPerEU: 24
; AccumOffset: 24
; Occupancy: 8
; WaveLimiterHint : 1
; COMPUTE_PGM_RSRC2:SCRATCH_EN: 0
; COMPUTE_PGM_RSRC2:USER_SGPR: 6
; COMPUTE_PGM_RSRC2:TRAP_HANDLER: 0
; COMPUTE_PGM_RSRC2:TGID_X_EN: 1
; COMPUTE_PGM_RSRC2:TGID_Y_EN: 0
; COMPUTE_PGM_RSRC2:TGID_Z_EN: 0
; COMPUTE_PGM_RSRC2:TIDIG_COMP_CNT: 0
; COMPUTE_PGM_RSRC3_GFX90A:ACCUM_OFFSET: 5
; COMPUTE_PGM_RSRC3_GFX90A:TG_SPLIT: 0
	.section	.text._ZN9rocsparseL22bsrxmvn_general_kernelILj64ELj8E21rocsparse_complex_numIfEiiS2_S2_S2_EEv20rocsparse_direction_NS_24const_host_device_scalarIT1_EET3_PKS7_PKT2_SC_S9_PKT4_S7_PKT5_S6_PT6_21rocsparse_index_base_b,"axG",@progbits,_ZN9rocsparseL22bsrxmvn_general_kernelILj64ELj8E21rocsparse_complex_numIfEiiS2_S2_S2_EEv20rocsparse_direction_NS_24const_host_device_scalarIT1_EET3_PKS7_PKT2_SC_S9_PKT4_S7_PKT5_S6_PT6_21rocsparse_index_base_b,comdat
	.globl	_ZN9rocsparseL22bsrxmvn_general_kernelILj64ELj8E21rocsparse_complex_numIfEiiS2_S2_S2_EEv20rocsparse_direction_NS_24const_host_device_scalarIT1_EET3_PKS7_PKT2_SC_S9_PKT4_S7_PKT5_S6_PT6_21rocsparse_index_base_b ; -- Begin function _ZN9rocsparseL22bsrxmvn_general_kernelILj64ELj8E21rocsparse_complex_numIfEiiS2_S2_S2_EEv20rocsparse_direction_NS_24const_host_device_scalarIT1_EET3_PKS7_PKT2_SC_S9_PKT4_S7_PKT5_S6_PT6_21rocsparse_index_base_b
	.p2align	8
	.type	_ZN9rocsparseL22bsrxmvn_general_kernelILj64ELj8E21rocsparse_complex_numIfEiiS2_S2_S2_EEv20rocsparse_direction_NS_24const_host_device_scalarIT1_EET3_PKS7_PKT2_SC_S9_PKT4_S7_PKT5_S6_PT6_21rocsparse_index_base_b,@function
_ZN9rocsparseL22bsrxmvn_general_kernelILj64ELj8E21rocsparse_complex_numIfEiiS2_S2_S2_EEv20rocsparse_direction_NS_24const_host_device_scalarIT1_EET3_PKS7_PKT2_SC_S9_PKT4_S7_PKT5_S6_PT6_21rocsparse_index_base_b: ; @_ZN9rocsparseL22bsrxmvn_general_kernelILj64ELj8E21rocsparse_complex_numIfEiiS2_S2_S2_EEv20rocsparse_direction_NS_24const_host_device_scalarIT1_EET3_PKS7_PKT2_SC_S9_PKT4_S7_PKT5_S6_PT6_21rocsparse_index_base_b
; %bb.0:
	s_load_dwordx2 s[16:17], s[4:5], 0x60
	s_load_dwordx2 s[8:9], s[4:5], 0x8
	;; [unrolled: 1-line block ×3, first 2 shown]
	s_waitcnt lgkmcnt(0)
	s_bitcmp1_b32 s17, 0
	s_cselect_b64 s[0:1], -1, 0
	s_xor_b64 s[10:11], s[0:1], -1
	s_and_b64 vcc, exec, s[0:1]
	v_mov_b32_e32 v2, s8
	s_cbranch_vccnz .LBB6_2
; %bb.1:
	v_pk_mov_b32 v[2:3], s[8:9], s[8:9] op_sel:[0,1]
	flat_load_dword v2, v[2:3]
.LBB6_2:
	v_cndmask_b32_e64 v1, 0, 1, s[10:11]
	v_cmp_ne_u32_e64 s[0:1], 1, v1
	s_andn2_b64 vcc, exec, s[10:11]
	v_mov_b32_e32 v3, s9
	s_cbranch_vccz .LBB6_31
; %bb.3:
	s_and_b64 vcc, exec, s[0:1]
	v_mov_b32_e32 v4, s2
	s_cbranch_vccz .LBB6_32
.LBB6_4:
	s_and_b64 vcc, exec, s[0:1]
	v_mov_b32_e32 v5, s3
	s_cbranch_vccnz .LBB6_6
.LBB6_5:
	v_pk_mov_b32 v[6:7], s[2:3], s[2:3] op_sel:[0,1]
	flat_load_dword v5, v[6:7] offset:4
.LBB6_6:
	s_waitcnt vmcnt(0) lgkmcnt(0)
	v_and_b32_e32 v1, 0x7fffffff, v2
	v_cmp_eq_u32_e32 vcc, 0, v1
	v_cmp_eq_f32_e64 s[0:1], 0, v3
	s_and_b64 s[8:9], vcc, s[0:1]
	s_mov_b64 s[0:1], -1
	s_and_saveexec_b64 s[2:3], s[8:9]
; %bb.7:
	v_and_b32_e32 v1, 0x7fffffff, v5
	v_cmp_neq_f32_e32 vcc, 1.0, v4
	v_cmp_ne_u32_e64 s[0:1], 0, v1
	s_or_b64 s[0:1], vcc, s[0:1]
	s_orn2_b64 s[0:1], s[0:1], exec
; %bb.8:
	s_or_b64 exec, exec, s[2:3]
	s_and_saveexec_b64 s[2:3], s[0:1]
	s_cbranch_execz .LBB6_30
; %bb.9:
	s_load_dwordx2 s[0:1], s[4:5], 0x18
	s_waitcnt lgkmcnt(0)
	s_cmp_eq_u64 s[0:1], 0
	s_cbranch_scc1 .LBB6_11
; %bb.10:
	s_ashr_i32 s7, s6, 31
	s_lshl_b64 s[2:3], s[6:7], 2
	s_add_u32 s0, s0, s2
	s_addc_u32 s1, s1, s3
	s_load_dword s0, s[0:1], 0x0
	s_waitcnt lgkmcnt(0)
	s_sub_i32 s6, s0, s16
.LBB6_11:
	s_load_dword s17, s[4:5], 0x40
	v_lshrrev_b32_e32 v6, 3, v0
	s_waitcnt lgkmcnt(0)
	v_cmp_gt_i32_e32 vcc, s17, v6
	s_and_b64 exec, exec, vcc
	s_cbranch_execz .LBB6_30
; %bb.12:
	s_load_dwordx8 s[8:15], s[4:5], 0x20
	s_ashr_i32 s7, s6, 31
	s_lshl_b64 s[0:1], s[6:7], 2
	v_and_b32_e32 v1, 0x7fffffff, v4
	s_mul_hi_u32 s34, s17, s17
	s_waitcnt lgkmcnt(0)
	s_add_u32 s2, s8, s0
	s_addc_u32 s3, s9, s1
	s_load_dword s7, s[2:3], 0x0
	s_load_dwordx2 s[8:9], s[4:5], 0x58
	s_load_dwordx2 s[18:19], s[4:5], 0x48
	s_mul_i32 s36, s17, s17
	v_cmp_eq_u32_e32 vcc, 0, v1
	s_waitcnt lgkmcnt(0)
	s_sub_i32 s33, s7, s16
	s_add_u32 s2, s2, 4
	s_addc_u32 s3, s3, 0
	s_add_u32 s0, s10, s0
	s_addc_u32 s1, s11, s1
	s_cmp_eq_u64 s[10:11], 0
	s_cselect_b32 s1, s3, s1
	s_cselect_b32 s0, s2, s0
	s_load_dword s2, s[0:1], 0x0
	s_load_dword s3, s[4:5], 0x0
	v_cmp_eq_f32_e64 s[4:5], 0, v5
	s_mul_i32 s37, s6, s17
	s_mul_hi_u32 s6, s33, s36
	s_waitcnt lgkmcnt(0)
	s_sub_i32 s35, s2, s16
	s_cmp_lt_i32 s7, s2
	s_cselect_b64 s[26:27], -1, 0
	s_cmp_lg_u32 s3, 0
	s_cselect_b64 s[22:23], -1, 0
	s_and_b64 s[24:25], vcc, s[4:5]
	s_ashr_i32 s4, s33, 31
	s_mul_i32 s5, s33, s34
	v_and_b32_e32 v0, 7, v0
	s_add_i32 s5, s6, s5
	s_mul_i32 s4, s4, s36
	v_cndmask_b32_e64 v7, 0, 1, s[26:27]
	s_mov_b64 s[20:21], 0
	s_mov_b32 s10, 0
	v_cmp_gt_u32_e64 s[0:1], s17, v0
	v_cmp_eq_u32_e64 s[2:3], 7, v0
	v_xor_b32_e32 v8, 0x80000000, v3
	v_xor_b32_e32 v10, 0x80000000, v5
	v_mov_b32_e32 v9, v2
	v_mov_b32_e32 v11, v4
	s_add_i32 s38, s5, s4
	s_mul_i32 s39, s33, s36
	v_mul_lo_u32 v22, s17, v6
	s_lshl_b32 s40, s17, 3
	v_mov_b32_e32 v1, 0
	v_mul_lo_u32 v23, s17, v0
	v_cmp_ne_u32_e64 s[4:5], 1, v7
	s_branch .LBB6_14
.LBB6_13:                               ;   in Loop: Header=BB6_14 Depth=1
	s_or_b64 exec, exec, s[6:7]
	v_add_u32_e32 v6, 8, v6
	v_cmp_le_i32_e32 vcc, s17, v6
	s_or_b64 s[20:21], vcc, s[20:21]
	v_add_u32_e32 v22, s40, v22
	s_andn2_b64 exec, exec, s[20:21]
	s_cbranch_execz .LBB6_30
.LBB6_14:                               ; =>This Loop Header: Depth=1
                                        ;     Child Loop BB6_18 Depth 2
                                        ;       Child Loop BB6_21 Depth 3
	s_mov_b32 s11, s10
	s_and_b64 vcc, exec, s[4:5]
	v_pk_mov_b32 v[12:13], s[10:11], s[10:11] op_sel:[0,1]
	s_cbranch_vccnz .LBB6_25
; %bb.15:                               ;   in Loop: Header=BB6_14 Depth=1
	v_ashrrev_i32_e32 v7, 31, v22
	v_mov_b32_e32 v12, s38
	v_add_co_u32_e32 v14, vcc, s39, v22
	v_addc_co_u32_e32 v15, vcc, v12, v7, vcc
	v_ashrrev_i32_e32 v7, 31, v6
	v_pk_mov_b32 v[12:13], s[10:11], s[10:11] op_sel:[0,1]
	s_mov_b32 s6, s33
	s_branch .LBB6_18
.LBB6_16:                               ;   in Loop: Header=BB6_18 Depth=2
	s_or_b64 exec, exec, s[28:29]
.LBB6_17:                               ;   in Loop: Header=BB6_18 Depth=2
	s_or_b64 exec, exec, s[26:27]
	s_add_i32 s6, s6, 1
	v_mov_b32_e32 v16, s34
	v_add_co_u32_e32 v14, vcc, s36, v14
	s_cmp_ge_i32 s6, s35
	v_addc_co_u32_e32 v15, vcc, v15, v16, vcc
	s_cbranch_scc1 .LBB6_25
.LBB6_18:                               ;   Parent Loop BB6_14 Depth=1
                                        ; =>  This Loop Header: Depth=2
                                        ;       Child Loop BB6_21 Depth 3
	s_and_saveexec_b64 s[26:27], s[0:1]
	s_cbranch_execz .LBB6_17
; %bb.19:                               ;   in Loop: Header=BB6_18 Depth=2
	s_ashr_i32 s7, s6, 31
	s_lshl_b64 s[28:29], s[6:7], 2
	s_add_u32 s28, s12, s28
	s_addc_u32 s29, s13, s29
	s_load_dword s11, s[28:29], 0x0
	s_mul_i32 s28, s34, s6
	v_mov_b32_e32 v16, s6
	s_mul_i32 s7, s36, s7
	s_add_i32 s7, s7, s28
	s_waitcnt lgkmcnt(0)
	s_sub_i32 s11, s11, s16
	v_mad_u64_u32 v[16:17], s[28:29], s36, v16, v[6:7]
	v_add_u32_e32 v17, s7, v17
	s_mul_i32 s7, s11, s17
	s_mov_b64 s[28:29], 0
	v_mov_b32_e32 v24, v23
	v_pk_mov_b32 v[18:19], v[0:1], v[0:1] op_sel:[0,1]
	s_branch .LBB6_21
.LBB6_20:                               ;   in Loop: Header=BB6_21 Depth=3
	v_lshlrev_b64 v[20:21], 3, v[20:21]
	v_add_u32_e32 v26, s7, v18
	v_mov_b32_e32 v25, s15
	v_add_co_u32_e32 v20, vcc, s14, v20
	v_ashrrev_i32_e32 v27, 31, v26
	v_addc_co_u32_e32 v21, vcc, v25, v21, vcc
	v_lshlrev_b64 v[26:27], 3, v[26:27]
	v_mov_b32_e32 v25, s19
	v_add_co_u32_e32 v26, vcc, s18, v26
	v_addc_co_u32_e32 v27, vcc, v25, v27, vcc
	global_load_dwordx2 v[28:29], v[20:21], off
	global_load_dwordx2 v[30:31], v[26:27], off
	v_add_co_u32_e32 v18, vcc, 8, v18
	v_addc_co_u32_e32 v19, vcc, 0, v19, vcc
	v_cmp_le_i32_e32 vcc, s17, v18
	s_or_b64 s[28:29], vcc, s[28:29]
	v_add_u32_e32 v24, s40, v24
	s_waitcnt vmcnt(0)
	v_pk_fma_f32 v[12:13], v[28:29], v[30:31], v[12:13] op_sel_hi:[1,0,1]
	v_pk_fma_f32 v[12:13], v[28:29], v[30:31], v[12:13] op_sel:[1,1,0] op_sel_hi:[0,1,1] neg_lo:[1,0,0]
	s_andn2_b64 exec, exec, s[28:29]
	s_cbranch_execz .LBB6_16
.LBB6_21:                               ;   Parent Loop BB6_14 Depth=1
                                        ;     Parent Loop BB6_18 Depth=2
                                        ; =>    This Inner Loop Header: Depth=3
	s_and_b64 vcc, exec, s[22:23]
	s_cbranch_vccz .LBB6_23
; %bb.22:                               ;   in Loop: Header=BB6_21 Depth=3
	v_ashrrev_i32_e32 v21, 31, v24
	v_add_co_u32_e32 v20, vcc, v16, v24
	v_addc_co_u32_e32 v21, vcc, v17, v21, vcc
	s_cbranch_execnz .LBB6_20
	s_branch .LBB6_24
.LBB6_23:                               ;   in Loop: Header=BB6_21 Depth=3
                                        ; implicit-def: $vgpr20_vgpr21
.LBB6_24:                               ;   in Loop: Header=BB6_21 Depth=3
	v_add_co_u32_e32 v20, vcc, v14, v18
	v_addc_co_u32_e32 v21, vcc, v15, v19, vcc
	s_branch .LBB6_20
.LBB6_25:                               ;   in Loop: Header=BB6_14 Depth=1
	s_nop 0
	v_mov_b32_dpp v7, v12 row_shr:1 row_mask:0xf bank_mask:0xf
	v_mov_b32_dpp v14, v13 row_shr:1 row_mask:0xf bank_mask:0xf
	v_add_f32_e32 v7, v12, v7
	v_add_f32_e32 v13, v13, v14
	s_nop 0
	v_mov_b32_dpp v12, v7 row_shr:2 row_mask:0xf bank_mask:0xf
	v_mov_b32_dpp v14, v13 row_shr:2 row_mask:0xf bank_mask:0xf
	v_add_f32_e32 v7, v7, v12
	v_add_f32_e32 v13, v13, v14
	s_nop 0
	v_mov_b32_dpp v12, v7 row_shr:4 row_mask:0xf bank_mask:0xe
	v_mov_b32_dpp v14, v13 row_shr:4 row_mask:0xf bank_mask:0xe
	s_and_saveexec_b64 s[6:7], s[2:3]
	s_cbranch_execz .LBB6_13
; %bb.26:                               ;   in Loop: Header=BB6_14 Depth=1
	v_add_u32_e32 v16, s37, v6
	v_add_f32_e32 v12, v7, v12
	v_add_f32_e32 v14, v13, v14
	v_ashrrev_i32_e32 v17, 31, v16
	s_and_saveexec_b64 s[26:27], s[24:25]
	s_xor_b64 s[26:27], exec, s[26:27]
	s_cbranch_execz .LBB6_28
; %bb.27:                               ;   in Loop: Header=BB6_14 Depth=1
	v_lshlrev_b64 v[16:17], 3, v[16:17]
	v_mov_b32_e32 v7, s9
	v_add_co_u32_e32 v16, vcc, s8, v16
	v_pk_mul_f32 v[14:15], v[14:15], v[8:9] op_sel_hi:[0,1]
	v_addc_co_u32_e32 v17, vcc, v7, v17, vcc
	v_pk_fma_f32 v[12:13], v[2:3], v[12:13], v[14:15] op_sel_hi:[1,0,1]
	global_store_dwordx2 v[16:17], v[12:13], off
                                        ; implicit-def: $vgpr16
                                        ; implicit-def: $vgpr14
                                        ; implicit-def: $vgpr12
.LBB6_28:                               ;   in Loop: Header=BB6_14 Depth=1
	s_andn2_saveexec_b64 s[26:27], s[26:27]
	s_cbranch_execz .LBB6_13
; %bb.29:                               ;   in Loop: Header=BB6_14 Depth=1
	v_lshlrev_b64 v[16:17], 3, v[16:17]
	v_mov_b32_e32 v7, s9
	v_add_co_u32_e32 v16, vcc, s8, v16
	v_addc_co_u32_e32 v17, vcc, v7, v17, vcc
	global_load_dwordx2 v[18:19], v[16:17], off
	v_pk_mul_f32 v[14:15], v[14:15], v[8:9] op_sel_hi:[0,1]
	v_pk_fma_f32 v[12:13], v[2:3], v[12:13], v[14:15] op_sel_hi:[1,0,1]
	s_waitcnt vmcnt(0)
	v_pk_fma_f32 v[12:13], v[4:5], v[18:19], v[12:13] op_sel_hi:[1,0,1]
	v_pk_fma_f32 v[12:13], v[10:11], v[18:19], v[12:13] op_sel:[0,1,0]
	global_store_dwordx2 v[16:17], v[12:13], off
	s_branch .LBB6_13
.LBB6_30:
	s_endpgm
.LBB6_31:
	v_pk_mov_b32 v[4:5], s[8:9], s[8:9] op_sel:[0,1]
	flat_load_dword v3, v[4:5] offset:4
	s_and_b64 vcc, exec, s[0:1]
	v_mov_b32_e32 v4, s2
	s_cbranch_vccnz .LBB6_4
.LBB6_32:
	v_pk_mov_b32 v[4:5], s[2:3], s[2:3] op_sel:[0,1]
	flat_load_dword v4, v[4:5]
	s_and_b64 vcc, exec, s[0:1]
	v_mov_b32_e32 v5, s3
	s_cbranch_vccz .LBB6_5
	s_branch .LBB6_6
	.section	.rodata,"a",@progbits
	.p2align	6, 0x0
	.amdhsa_kernel _ZN9rocsparseL22bsrxmvn_general_kernelILj64ELj8E21rocsparse_complex_numIfEiiS2_S2_S2_EEv20rocsparse_direction_NS_24const_host_device_scalarIT1_EET3_PKS7_PKT2_SC_S9_PKT4_S7_PKT5_S6_PT6_21rocsparse_index_base_b
		.amdhsa_group_segment_fixed_size 0
		.amdhsa_private_segment_fixed_size 0
		.amdhsa_kernarg_size 104
		.amdhsa_user_sgpr_count 6
		.amdhsa_user_sgpr_private_segment_buffer 1
		.amdhsa_user_sgpr_dispatch_ptr 0
		.amdhsa_user_sgpr_queue_ptr 0
		.amdhsa_user_sgpr_kernarg_segment_ptr 1
		.amdhsa_user_sgpr_dispatch_id 0
		.amdhsa_user_sgpr_flat_scratch_init 0
		.amdhsa_user_sgpr_kernarg_preload_length 0
		.amdhsa_user_sgpr_kernarg_preload_offset 0
		.amdhsa_user_sgpr_private_segment_size 0
		.amdhsa_uses_dynamic_stack 0
		.amdhsa_system_sgpr_private_segment_wavefront_offset 0
		.amdhsa_system_sgpr_workgroup_id_x 1
		.amdhsa_system_sgpr_workgroup_id_y 0
		.amdhsa_system_sgpr_workgroup_id_z 0
		.amdhsa_system_sgpr_workgroup_info 0
		.amdhsa_system_vgpr_workitem_id 0
		.amdhsa_next_free_vgpr 32
		.amdhsa_next_free_sgpr 41
		.amdhsa_accum_offset 32
		.amdhsa_reserve_vcc 1
		.amdhsa_reserve_flat_scratch 0
		.amdhsa_float_round_mode_32 0
		.amdhsa_float_round_mode_16_64 0
		.amdhsa_float_denorm_mode_32 3
		.amdhsa_float_denorm_mode_16_64 3
		.amdhsa_dx10_clamp 1
		.amdhsa_ieee_mode 1
		.amdhsa_fp16_overflow 0
		.amdhsa_tg_split 0
		.amdhsa_exception_fp_ieee_invalid_op 0
		.amdhsa_exception_fp_denorm_src 0
		.amdhsa_exception_fp_ieee_div_zero 0
		.amdhsa_exception_fp_ieee_overflow 0
		.amdhsa_exception_fp_ieee_underflow 0
		.amdhsa_exception_fp_ieee_inexact 0
		.amdhsa_exception_int_div_zero 0
	.end_amdhsa_kernel
	.section	.text._ZN9rocsparseL22bsrxmvn_general_kernelILj64ELj8E21rocsparse_complex_numIfEiiS2_S2_S2_EEv20rocsparse_direction_NS_24const_host_device_scalarIT1_EET3_PKS7_PKT2_SC_S9_PKT4_S7_PKT5_S6_PT6_21rocsparse_index_base_b,"axG",@progbits,_ZN9rocsparseL22bsrxmvn_general_kernelILj64ELj8E21rocsparse_complex_numIfEiiS2_S2_S2_EEv20rocsparse_direction_NS_24const_host_device_scalarIT1_EET3_PKS7_PKT2_SC_S9_PKT4_S7_PKT5_S6_PT6_21rocsparse_index_base_b,comdat
.Lfunc_end6:
	.size	_ZN9rocsparseL22bsrxmvn_general_kernelILj64ELj8E21rocsparse_complex_numIfEiiS2_S2_S2_EEv20rocsparse_direction_NS_24const_host_device_scalarIT1_EET3_PKS7_PKT2_SC_S9_PKT4_S7_PKT5_S6_PT6_21rocsparse_index_base_b, .Lfunc_end6-_ZN9rocsparseL22bsrxmvn_general_kernelILj64ELj8E21rocsparse_complex_numIfEiiS2_S2_S2_EEv20rocsparse_direction_NS_24const_host_device_scalarIT1_EET3_PKS7_PKT2_SC_S9_PKT4_S7_PKT5_S6_PT6_21rocsparse_index_base_b
                                        ; -- End function
	.section	.AMDGPU.csdata,"",@progbits
; Kernel info:
; codeLenInByte = 1244
; NumSgprs: 45
; NumVgprs: 32
; NumAgprs: 0
; TotalNumVgprs: 32
; ScratchSize: 0
; MemoryBound: 0
; FloatMode: 240
; IeeeMode: 1
; LDSByteSize: 0 bytes/workgroup (compile time only)
; SGPRBlocks: 5
; VGPRBlocks: 3
; NumSGPRsForWavesPerEU: 45
; NumVGPRsForWavesPerEU: 32
; AccumOffset: 32
; Occupancy: 8
; WaveLimiterHint : 1
; COMPUTE_PGM_RSRC2:SCRATCH_EN: 0
; COMPUTE_PGM_RSRC2:USER_SGPR: 6
; COMPUTE_PGM_RSRC2:TRAP_HANDLER: 0
; COMPUTE_PGM_RSRC2:TGID_X_EN: 1
; COMPUTE_PGM_RSRC2:TGID_Y_EN: 0
; COMPUTE_PGM_RSRC2:TGID_Z_EN: 0
; COMPUTE_PGM_RSRC2:TIDIG_COMP_CNT: 0
; COMPUTE_PGM_RSRC3_GFX90A:ACCUM_OFFSET: 7
; COMPUTE_PGM_RSRC3_GFX90A:TG_SPLIT: 0
	.section	.text._ZN9rocsparseL22bsrxmvn_general_kernelILj256ELj16E21rocsparse_complex_numIfEiiS2_S2_S2_EEv20rocsparse_direction_NS_24const_host_device_scalarIT1_EET3_PKS7_PKT2_SC_S9_PKT4_S7_PKT5_S6_PT6_21rocsparse_index_base_b,"axG",@progbits,_ZN9rocsparseL22bsrxmvn_general_kernelILj256ELj16E21rocsparse_complex_numIfEiiS2_S2_S2_EEv20rocsparse_direction_NS_24const_host_device_scalarIT1_EET3_PKS7_PKT2_SC_S9_PKT4_S7_PKT5_S6_PT6_21rocsparse_index_base_b,comdat
	.globl	_ZN9rocsparseL22bsrxmvn_general_kernelILj256ELj16E21rocsparse_complex_numIfEiiS2_S2_S2_EEv20rocsparse_direction_NS_24const_host_device_scalarIT1_EET3_PKS7_PKT2_SC_S9_PKT4_S7_PKT5_S6_PT6_21rocsparse_index_base_b ; -- Begin function _ZN9rocsparseL22bsrxmvn_general_kernelILj256ELj16E21rocsparse_complex_numIfEiiS2_S2_S2_EEv20rocsparse_direction_NS_24const_host_device_scalarIT1_EET3_PKS7_PKT2_SC_S9_PKT4_S7_PKT5_S6_PT6_21rocsparse_index_base_b
	.p2align	8
	.type	_ZN9rocsparseL22bsrxmvn_general_kernelILj256ELj16E21rocsparse_complex_numIfEiiS2_S2_S2_EEv20rocsparse_direction_NS_24const_host_device_scalarIT1_EET3_PKS7_PKT2_SC_S9_PKT4_S7_PKT5_S6_PT6_21rocsparse_index_base_b,@function
_ZN9rocsparseL22bsrxmvn_general_kernelILj256ELj16E21rocsparse_complex_numIfEiiS2_S2_S2_EEv20rocsparse_direction_NS_24const_host_device_scalarIT1_EET3_PKS7_PKT2_SC_S9_PKT4_S7_PKT5_S6_PT6_21rocsparse_index_base_b: ; @_ZN9rocsparseL22bsrxmvn_general_kernelILj256ELj16E21rocsparse_complex_numIfEiiS2_S2_S2_EEv20rocsparse_direction_NS_24const_host_device_scalarIT1_EET3_PKS7_PKT2_SC_S9_PKT4_S7_PKT5_S6_PT6_21rocsparse_index_base_b
; %bb.0:
	s_load_dwordx2 s[16:17], s[4:5], 0x60
	s_load_dwordx2 s[8:9], s[4:5], 0x8
	;; [unrolled: 1-line block ×3, first 2 shown]
	s_waitcnt lgkmcnt(0)
	s_bitcmp1_b32 s17, 0
	s_cselect_b64 s[0:1], -1, 0
	s_xor_b64 s[10:11], s[0:1], -1
	s_and_b64 vcc, exec, s[0:1]
	v_mov_b32_e32 v2, s8
	s_cbranch_vccnz .LBB7_2
; %bb.1:
	v_pk_mov_b32 v[2:3], s[8:9], s[8:9] op_sel:[0,1]
	flat_load_dword v2, v[2:3]
.LBB7_2:
	v_cndmask_b32_e64 v1, 0, 1, s[10:11]
	v_cmp_ne_u32_e64 s[0:1], 1, v1
	s_andn2_b64 vcc, exec, s[10:11]
	v_mov_b32_e32 v3, s9
	s_cbranch_vccz .LBB7_31
; %bb.3:
	s_and_b64 vcc, exec, s[0:1]
	v_mov_b32_e32 v4, s2
	s_cbranch_vccz .LBB7_32
.LBB7_4:
	s_and_b64 vcc, exec, s[0:1]
	v_mov_b32_e32 v5, s3
	s_cbranch_vccnz .LBB7_6
.LBB7_5:
	v_pk_mov_b32 v[6:7], s[2:3], s[2:3] op_sel:[0,1]
	flat_load_dword v5, v[6:7] offset:4
.LBB7_6:
	s_waitcnt vmcnt(0) lgkmcnt(0)
	v_and_b32_e32 v1, 0x7fffffff, v2
	v_cmp_eq_u32_e32 vcc, 0, v1
	v_cmp_eq_f32_e64 s[0:1], 0, v3
	s_and_b64 s[8:9], vcc, s[0:1]
	s_mov_b64 s[0:1], -1
	s_and_saveexec_b64 s[2:3], s[8:9]
; %bb.7:
	v_and_b32_e32 v1, 0x7fffffff, v5
	v_cmp_neq_f32_e32 vcc, 1.0, v4
	v_cmp_ne_u32_e64 s[0:1], 0, v1
	s_or_b64 s[0:1], vcc, s[0:1]
	s_orn2_b64 s[0:1], s[0:1], exec
; %bb.8:
	s_or_b64 exec, exec, s[2:3]
	s_and_saveexec_b64 s[2:3], s[0:1]
	s_cbranch_execz .LBB7_30
; %bb.9:
	s_load_dwordx2 s[0:1], s[4:5], 0x18
	s_waitcnt lgkmcnt(0)
	s_cmp_eq_u64 s[0:1], 0
	s_cbranch_scc1 .LBB7_11
; %bb.10:
	s_ashr_i32 s7, s6, 31
	s_lshl_b64 s[2:3], s[6:7], 2
	s_add_u32 s0, s0, s2
	s_addc_u32 s1, s1, s3
	s_load_dword s0, s[0:1], 0x0
	s_waitcnt lgkmcnt(0)
	s_sub_i32 s6, s0, s16
.LBB7_11:
	s_load_dword s17, s[4:5], 0x40
	v_lshrrev_b32_e32 v6, 4, v0
	s_waitcnt lgkmcnt(0)
	v_cmp_gt_i32_e32 vcc, s17, v6
	s_and_b64 exec, exec, vcc
	s_cbranch_execz .LBB7_30
; %bb.12:
	s_load_dwordx8 s[8:15], s[4:5], 0x20
	s_ashr_i32 s7, s6, 31
	s_lshl_b64 s[0:1], s[6:7], 2
	v_and_b32_e32 v1, 0x7fffffff, v4
	s_mul_hi_u32 s34, s17, s17
	s_waitcnt lgkmcnt(0)
	s_add_u32 s2, s8, s0
	s_addc_u32 s3, s9, s1
	s_load_dword s7, s[2:3], 0x0
	s_load_dwordx2 s[8:9], s[4:5], 0x58
	s_load_dwordx2 s[18:19], s[4:5], 0x48
	s_mul_i32 s36, s17, s17
	v_cmp_eq_u32_e32 vcc, 0, v1
	s_waitcnt lgkmcnt(0)
	s_sub_i32 s33, s7, s16
	s_add_u32 s2, s2, 4
	s_addc_u32 s3, s3, 0
	s_add_u32 s0, s10, s0
	s_addc_u32 s1, s11, s1
	s_cmp_eq_u64 s[10:11], 0
	s_cselect_b32 s1, s3, s1
	s_cselect_b32 s0, s2, s0
	s_load_dword s2, s[0:1], 0x0
	s_load_dword s3, s[4:5], 0x0
	v_cmp_eq_f32_e64 s[4:5], 0, v5
	s_mul_i32 s37, s6, s17
	s_mul_hi_u32 s6, s33, s36
	s_waitcnt lgkmcnt(0)
	s_sub_i32 s35, s2, s16
	s_cmp_lt_i32 s7, s2
	s_cselect_b64 s[26:27], -1, 0
	s_cmp_lg_u32 s3, 0
	s_cselect_b64 s[22:23], -1, 0
	s_and_b64 s[24:25], vcc, s[4:5]
	s_ashr_i32 s4, s33, 31
	s_mul_i32 s5, s33, s34
	v_and_b32_e32 v0, 15, v0
	s_add_i32 s5, s6, s5
	s_mul_i32 s4, s4, s36
	v_cndmask_b32_e64 v7, 0, 1, s[26:27]
	s_mov_b64 s[20:21], 0
	s_mov_b32 s10, 0
	v_cmp_gt_u32_e64 s[0:1], s17, v0
	v_cmp_eq_u32_e64 s[2:3], 15, v0
	v_xor_b32_e32 v8, 0x80000000, v3
	v_xor_b32_e32 v10, 0x80000000, v5
	v_mov_b32_e32 v9, v2
	v_mov_b32_e32 v11, v4
	s_add_i32 s38, s5, s4
	s_mul_i32 s39, s33, s36
	v_mul_lo_u32 v22, s17, v6
	s_lshl_b32 s40, s17, 4
	v_mov_b32_e32 v1, 0
	v_mul_lo_u32 v23, s17, v0
	v_cmp_ne_u32_e64 s[4:5], 1, v7
	s_branch .LBB7_14
.LBB7_13:                               ;   in Loop: Header=BB7_14 Depth=1
	s_or_b64 exec, exec, s[6:7]
	v_add_u32_e32 v6, 16, v6
	v_cmp_le_i32_e32 vcc, s17, v6
	s_or_b64 s[20:21], vcc, s[20:21]
	v_add_u32_e32 v22, s40, v22
	s_andn2_b64 exec, exec, s[20:21]
	s_cbranch_execz .LBB7_30
.LBB7_14:                               ; =>This Loop Header: Depth=1
                                        ;     Child Loop BB7_18 Depth 2
                                        ;       Child Loop BB7_21 Depth 3
	s_mov_b32 s11, s10
	s_and_b64 vcc, exec, s[4:5]
	v_pk_mov_b32 v[12:13], s[10:11], s[10:11] op_sel:[0,1]
	s_cbranch_vccnz .LBB7_25
; %bb.15:                               ;   in Loop: Header=BB7_14 Depth=1
	v_ashrrev_i32_e32 v7, 31, v22
	v_mov_b32_e32 v12, s38
	v_add_co_u32_e32 v14, vcc, s39, v22
	v_addc_co_u32_e32 v15, vcc, v12, v7, vcc
	v_ashrrev_i32_e32 v7, 31, v6
	v_pk_mov_b32 v[12:13], s[10:11], s[10:11] op_sel:[0,1]
	s_mov_b32 s6, s33
	s_branch .LBB7_18
.LBB7_16:                               ;   in Loop: Header=BB7_18 Depth=2
	s_or_b64 exec, exec, s[28:29]
.LBB7_17:                               ;   in Loop: Header=BB7_18 Depth=2
	s_or_b64 exec, exec, s[26:27]
	s_add_i32 s6, s6, 1
	v_mov_b32_e32 v16, s34
	v_add_co_u32_e32 v14, vcc, s36, v14
	s_cmp_ge_i32 s6, s35
	v_addc_co_u32_e32 v15, vcc, v15, v16, vcc
	s_cbranch_scc1 .LBB7_25
.LBB7_18:                               ;   Parent Loop BB7_14 Depth=1
                                        ; =>  This Loop Header: Depth=2
                                        ;       Child Loop BB7_21 Depth 3
	s_and_saveexec_b64 s[26:27], s[0:1]
	s_cbranch_execz .LBB7_17
; %bb.19:                               ;   in Loop: Header=BB7_18 Depth=2
	s_ashr_i32 s7, s6, 31
	s_lshl_b64 s[28:29], s[6:7], 2
	s_add_u32 s28, s12, s28
	s_addc_u32 s29, s13, s29
	s_load_dword s11, s[28:29], 0x0
	s_mul_i32 s28, s34, s6
	v_mov_b32_e32 v16, s6
	s_mul_i32 s7, s36, s7
	s_add_i32 s7, s7, s28
	s_waitcnt lgkmcnt(0)
	s_sub_i32 s11, s11, s16
	v_mad_u64_u32 v[16:17], s[28:29], s36, v16, v[6:7]
	v_add_u32_e32 v17, s7, v17
	s_mul_i32 s7, s11, s17
	s_mov_b64 s[28:29], 0
	v_mov_b32_e32 v24, v23
	v_pk_mov_b32 v[18:19], v[0:1], v[0:1] op_sel:[0,1]
	s_branch .LBB7_21
.LBB7_20:                               ;   in Loop: Header=BB7_21 Depth=3
	v_lshlrev_b64 v[20:21], 3, v[20:21]
	v_add_u32_e32 v26, s7, v18
	v_mov_b32_e32 v25, s15
	v_add_co_u32_e32 v20, vcc, s14, v20
	v_ashrrev_i32_e32 v27, 31, v26
	v_addc_co_u32_e32 v21, vcc, v25, v21, vcc
	v_lshlrev_b64 v[26:27], 3, v[26:27]
	v_mov_b32_e32 v25, s19
	v_add_co_u32_e32 v26, vcc, s18, v26
	v_addc_co_u32_e32 v27, vcc, v25, v27, vcc
	global_load_dwordx2 v[28:29], v[20:21], off
	global_load_dwordx2 v[30:31], v[26:27], off
	v_add_co_u32_e32 v18, vcc, 16, v18
	v_addc_co_u32_e32 v19, vcc, 0, v19, vcc
	v_cmp_le_i32_e32 vcc, s17, v18
	s_or_b64 s[28:29], vcc, s[28:29]
	v_add_u32_e32 v24, s40, v24
	s_waitcnt vmcnt(0)
	v_pk_fma_f32 v[12:13], v[28:29], v[30:31], v[12:13] op_sel_hi:[1,0,1]
	v_pk_fma_f32 v[12:13], v[28:29], v[30:31], v[12:13] op_sel:[1,1,0] op_sel_hi:[0,1,1] neg_lo:[1,0,0]
	s_andn2_b64 exec, exec, s[28:29]
	s_cbranch_execz .LBB7_16
.LBB7_21:                               ;   Parent Loop BB7_14 Depth=1
                                        ;     Parent Loop BB7_18 Depth=2
                                        ; =>    This Inner Loop Header: Depth=3
	s_and_b64 vcc, exec, s[22:23]
	s_cbranch_vccz .LBB7_23
; %bb.22:                               ;   in Loop: Header=BB7_21 Depth=3
	v_ashrrev_i32_e32 v21, 31, v24
	v_add_co_u32_e32 v20, vcc, v16, v24
	v_addc_co_u32_e32 v21, vcc, v17, v21, vcc
	s_cbranch_execnz .LBB7_20
	s_branch .LBB7_24
.LBB7_23:                               ;   in Loop: Header=BB7_21 Depth=3
                                        ; implicit-def: $vgpr20_vgpr21
.LBB7_24:                               ;   in Loop: Header=BB7_21 Depth=3
	v_add_co_u32_e32 v20, vcc, v14, v18
	v_addc_co_u32_e32 v21, vcc, v15, v19, vcc
	s_branch .LBB7_20
.LBB7_25:                               ;   in Loop: Header=BB7_14 Depth=1
	s_nop 0
	v_mov_b32_dpp v7, v12 row_shr:1 row_mask:0xf bank_mask:0xf
	v_mov_b32_dpp v14, v13 row_shr:1 row_mask:0xf bank_mask:0xf
	v_add_f32_e32 v7, v12, v7
	v_add_f32_e32 v13, v13, v14
	s_nop 0
	v_mov_b32_dpp v12, v7 row_shr:2 row_mask:0xf bank_mask:0xf
	v_mov_b32_dpp v14, v13 row_shr:2 row_mask:0xf bank_mask:0xf
	v_add_f32_e32 v7, v7, v12
	v_add_f32_e32 v13, v13, v14
	;; [unrolled: 5-line block ×3, first 2 shown]
	s_nop 0
	v_mov_b32_dpp v12, v7 row_shr:8 row_mask:0xf bank_mask:0xc
	v_mov_b32_dpp v14, v13 row_shr:8 row_mask:0xf bank_mask:0xc
	s_and_saveexec_b64 s[6:7], s[2:3]
	s_cbranch_execz .LBB7_13
; %bb.26:                               ;   in Loop: Header=BB7_14 Depth=1
	v_add_u32_e32 v16, s37, v6
	v_add_f32_e32 v12, v7, v12
	v_add_f32_e32 v14, v13, v14
	v_ashrrev_i32_e32 v17, 31, v16
	s_and_saveexec_b64 s[26:27], s[24:25]
	s_xor_b64 s[26:27], exec, s[26:27]
	s_cbranch_execz .LBB7_28
; %bb.27:                               ;   in Loop: Header=BB7_14 Depth=1
	v_lshlrev_b64 v[16:17], 3, v[16:17]
	v_mov_b32_e32 v7, s9
	v_add_co_u32_e32 v16, vcc, s8, v16
	v_pk_mul_f32 v[14:15], v[14:15], v[8:9] op_sel_hi:[0,1]
	v_addc_co_u32_e32 v17, vcc, v7, v17, vcc
	v_pk_fma_f32 v[12:13], v[2:3], v[12:13], v[14:15] op_sel_hi:[1,0,1]
	global_store_dwordx2 v[16:17], v[12:13], off
                                        ; implicit-def: $vgpr16
                                        ; implicit-def: $vgpr14
                                        ; implicit-def: $vgpr12
.LBB7_28:                               ;   in Loop: Header=BB7_14 Depth=1
	s_andn2_saveexec_b64 s[26:27], s[26:27]
	s_cbranch_execz .LBB7_13
; %bb.29:                               ;   in Loop: Header=BB7_14 Depth=1
	v_lshlrev_b64 v[16:17], 3, v[16:17]
	v_mov_b32_e32 v7, s9
	v_add_co_u32_e32 v16, vcc, s8, v16
	v_addc_co_u32_e32 v17, vcc, v7, v17, vcc
	global_load_dwordx2 v[18:19], v[16:17], off
	v_pk_mul_f32 v[14:15], v[14:15], v[8:9] op_sel_hi:[0,1]
	v_pk_fma_f32 v[12:13], v[2:3], v[12:13], v[14:15] op_sel_hi:[1,0,1]
	s_waitcnt vmcnt(0)
	v_pk_fma_f32 v[12:13], v[4:5], v[18:19], v[12:13] op_sel_hi:[1,0,1]
	v_pk_fma_f32 v[12:13], v[10:11], v[18:19], v[12:13] op_sel:[0,1,0]
	global_store_dwordx2 v[16:17], v[12:13], off
	s_branch .LBB7_13
.LBB7_30:
	s_endpgm
.LBB7_31:
	v_pk_mov_b32 v[4:5], s[8:9], s[8:9] op_sel:[0,1]
	flat_load_dword v3, v[4:5] offset:4
	s_and_b64 vcc, exec, s[0:1]
	v_mov_b32_e32 v4, s2
	s_cbranch_vccnz .LBB7_4
.LBB7_32:
	v_pk_mov_b32 v[4:5], s[2:3], s[2:3] op_sel:[0,1]
	flat_load_dword v4, v[4:5]
	s_and_b64 vcc, exec, s[0:1]
	v_mov_b32_e32 v5, s3
	s_cbranch_vccz .LBB7_5
	s_branch .LBB7_6
	.section	.rodata,"a",@progbits
	.p2align	6, 0x0
	.amdhsa_kernel _ZN9rocsparseL22bsrxmvn_general_kernelILj256ELj16E21rocsparse_complex_numIfEiiS2_S2_S2_EEv20rocsparse_direction_NS_24const_host_device_scalarIT1_EET3_PKS7_PKT2_SC_S9_PKT4_S7_PKT5_S6_PT6_21rocsparse_index_base_b
		.amdhsa_group_segment_fixed_size 0
		.amdhsa_private_segment_fixed_size 0
		.amdhsa_kernarg_size 104
		.amdhsa_user_sgpr_count 6
		.amdhsa_user_sgpr_private_segment_buffer 1
		.amdhsa_user_sgpr_dispatch_ptr 0
		.amdhsa_user_sgpr_queue_ptr 0
		.amdhsa_user_sgpr_kernarg_segment_ptr 1
		.amdhsa_user_sgpr_dispatch_id 0
		.amdhsa_user_sgpr_flat_scratch_init 0
		.amdhsa_user_sgpr_kernarg_preload_length 0
		.amdhsa_user_sgpr_kernarg_preload_offset 0
		.amdhsa_user_sgpr_private_segment_size 0
		.amdhsa_uses_dynamic_stack 0
		.amdhsa_system_sgpr_private_segment_wavefront_offset 0
		.amdhsa_system_sgpr_workgroup_id_x 1
		.amdhsa_system_sgpr_workgroup_id_y 0
		.amdhsa_system_sgpr_workgroup_id_z 0
		.amdhsa_system_sgpr_workgroup_info 0
		.amdhsa_system_vgpr_workitem_id 0
		.amdhsa_next_free_vgpr 32
		.amdhsa_next_free_sgpr 41
		.amdhsa_accum_offset 32
		.amdhsa_reserve_vcc 1
		.amdhsa_reserve_flat_scratch 0
		.amdhsa_float_round_mode_32 0
		.amdhsa_float_round_mode_16_64 0
		.amdhsa_float_denorm_mode_32 3
		.amdhsa_float_denorm_mode_16_64 3
		.amdhsa_dx10_clamp 1
		.amdhsa_ieee_mode 1
		.amdhsa_fp16_overflow 0
		.amdhsa_tg_split 0
		.amdhsa_exception_fp_ieee_invalid_op 0
		.amdhsa_exception_fp_denorm_src 0
		.amdhsa_exception_fp_ieee_div_zero 0
		.amdhsa_exception_fp_ieee_overflow 0
		.amdhsa_exception_fp_ieee_underflow 0
		.amdhsa_exception_fp_ieee_inexact 0
		.amdhsa_exception_int_div_zero 0
	.end_amdhsa_kernel
	.section	.text._ZN9rocsparseL22bsrxmvn_general_kernelILj256ELj16E21rocsparse_complex_numIfEiiS2_S2_S2_EEv20rocsparse_direction_NS_24const_host_device_scalarIT1_EET3_PKS7_PKT2_SC_S9_PKT4_S7_PKT5_S6_PT6_21rocsparse_index_base_b,"axG",@progbits,_ZN9rocsparseL22bsrxmvn_general_kernelILj256ELj16E21rocsparse_complex_numIfEiiS2_S2_S2_EEv20rocsparse_direction_NS_24const_host_device_scalarIT1_EET3_PKS7_PKT2_SC_S9_PKT4_S7_PKT5_S6_PT6_21rocsparse_index_base_b,comdat
.Lfunc_end7:
	.size	_ZN9rocsparseL22bsrxmvn_general_kernelILj256ELj16E21rocsparse_complex_numIfEiiS2_S2_S2_EEv20rocsparse_direction_NS_24const_host_device_scalarIT1_EET3_PKS7_PKT2_SC_S9_PKT4_S7_PKT5_S6_PT6_21rocsparse_index_base_b, .Lfunc_end7-_ZN9rocsparseL22bsrxmvn_general_kernelILj256ELj16E21rocsparse_complex_numIfEiiS2_S2_S2_EEv20rocsparse_direction_NS_24const_host_device_scalarIT1_EET3_PKS7_PKT2_SC_S9_PKT4_S7_PKT5_S6_PT6_21rocsparse_index_base_b
                                        ; -- End function
	.section	.AMDGPU.csdata,"",@progbits
; Kernel info:
; codeLenInByte = 1272
; NumSgprs: 45
; NumVgprs: 32
; NumAgprs: 0
; TotalNumVgprs: 32
; ScratchSize: 0
; MemoryBound: 0
; FloatMode: 240
; IeeeMode: 1
; LDSByteSize: 0 bytes/workgroup (compile time only)
; SGPRBlocks: 5
; VGPRBlocks: 3
; NumSGPRsForWavesPerEU: 45
; NumVGPRsForWavesPerEU: 32
; AccumOffset: 32
; Occupancy: 8
; WaveLimiterHint : 1
; COMPUTE_PGM_RSRC2:SCRATCH_EN: 0
; COMPUTE_PGM_RSRC2:USER_SGPR: 6
; COMPUTE_PGM_RSRC2:TRAP_HANDLER: 0
; COMPUTE_PGM_RSRC2:TGID_X_EN: 1
; COMPUTE_PGM_RSRC2:TGID_Y_EN: 0
; COMPUTE_PGM_RSRC2:TGID_Z_EN: 0
; COMPUTE_PGM_RSRC2:TIDIG_COMP_CNT: 0
; COMPUTE_PGM_RSRC3_GFX90A:ACCUM_OFFSET: 7
; COMPUTE_PGM_RSRC3_GFX90A:TG_SPLIT: 0
	.section	.text._ZN9rocsparseL22bsrxmvn_general_kernelILj1024ELj32E21rocsparse_complex_numIfEiiS2_S2_S2_EEv20rocsparse_direction_NS_24const_host_device_scalarIT1_EET3_PKS7_PKT2_SC_S9_PKT4_S7_PKT5_S6_PT6_21rocsparse_index_base_b,"axG",@progbits,_ZN9rocsparseL22bsrxmvn_general_kernelILj1024ELj32E21rocsparse_complex_numIfEiiS2_S2_S2_EEv20rocsparse_direction_NS_24const_host_device_scalarIT1_EET3_PKS7_PKT2_SC_S9_PKT4_S7_PKT5_S6_PT6_21rocsparse_index_base_b,comdat
	.globl	_ZN9rocsparseL22bsrxmvn_general_kernelILj1024ELj32E21rocsparse_complex_numIfEiiS2_S2_S2_EEv20rocsparse_direction_NS_24const_host_device_scalarIT1_EET3_PKS7_PKT2_SC_S9_PKT4_S7_PKT5_S6_PT6_21rocsparse_index_base_b ; -- Begin function _ZN9rocsparseL22bsrxmvn_general_kernelILj1024ELj32E21rocsparse_complex_numIfEiiS2_S2_S2_EEv20rocsparse_direction_NS_24const_host_device_scalarIT1_EET3_PKS7_PKT2_SC_S9_PKT4_S7_PKT5_S6_PT6_21rocsparse_index_base_b
	.p2align	8
	.type	_ZN9rocsparseL22bsrxmvn_general_kernelILj1024ELj32E21rocsparse_complex_numIfEiiS2_S2_S2_EEv20rocsparse_direction_NS_24const_host_device_scalarIT1_EET3_PKS7_PKT2_SC_S9_PKT4_S7_PKT5_S6_PT6_21rocsparse_index_base_b,@function
_ZN9rocsparseL22bsrxmvn_general_kernelILj1024ELj32E21rocsparse_complex_numIfEiiS2_S2_S2_EEv20rocsparse_direction_NS_24const_host_device_scalarIT1_EET3_PKS7_PKT2_SC_S9_PKT4_S7_PKT5_S6_PT6_21rocsparse_index_base_b: ; @_ZN9rocsparseL22bsrxmvn_general_kernelILj1024ELj32E21rocsparse_complex_numIfEiiS2_S2_S2_EEv20rocsparse_direction_NS_24const_host_device_scalarIT1_EET3_PKS7_PKT2_SC_S9_PKT4_S7_PKT5_S6_PT6_21rocsparse_index_base_b
; %bb.0:
	s_load_dwordx2 s[16:17], s[4:5], 0x60
	s_load_dwordx2 s[8:9], s[4:5], 0x8
	;; [unrolled: 1-line block ×3, first 2 shown]
	s_waitcnt lgkmcnt(0)
	s_bitcmp1_b32 s17, 0
	s_cselect_b64 s[0:1], -1, 0
	s_xor_b64 s[10:11], s[0:1], -1
	s_and_b64 vcc, exec, s[0:1]
	v_mov_b32_e32 v2, s8
	s_cbranch_vccnz .LBB8_2
; %bb.1:
	v_pk_mov_b32 v[2:3], s[8:9], s[8:9] op_sel:[0,1]
	flat_load_dword v2, v[2:3]
.LBB8_2:
	v_cndmask_b32_e64 v1, 0, 1, s[10:11]
	v_cmp_ne_u32_e64 s[0:1], 1, v1
	s_andn2_b64 vcc, exec, s[10:11]
	v_mov_b32_e32 v3, s9
	s_cbranch_vccz .LBB8_31
; %bb.3:
	s_and_b64 vcc, exec, s[0:1]
	v_mov_b32_e32 v4, s2
	s_cbranch_vccz .LBB8_32
.LBB8_4:
	s_and_b64 vcc, exec, s[0:1]
	v_mov_b32_e32 v5, s3
	s_cbranch_vccnz .LBB8_6
.LBB8_5:
	v_pk_mov_b32 v[6:7], s[2:3], s[2:3] op_sel:[0,1]
	flat_load_dword v5, v[6:7] offset:4
.LBB8_6:
	s_waitcnt vmcnt(0) lgkmcnt(0)
	v_and_b32_e32 v1, 0x7fffffff, v2
	v_cmp_eq_u32_e32 vcc, 0, v1
	v_cmp_eq_f32_e64 s[0:1], 0, v3
	s_and_b64 s[8:9], vcc, s[0:1]
	s_mov_b64 s[0:1], -1
	s_and_saveexec_b64 s[2:3], s[8:9]
; %bb.7:
	v_and_b32_e32 v1, 0x7fffffff, v5
	v_cmp_neq_f32_e32 vcc, 1.0, v4
	v_cmp_ne_u32_e64 s[0:1], 0, v1
	s_or_b64 s[0:1], vcc, s[0:1]
	s_orn2_b64 s[0:1], s[0:1], exec
; %bb.8:
	s_or_b64 exec, exec, s[2:3]
	s_and_saveexec_b64 s[2:3], s[0:1]
	s_cbranch_execz .LBB8_30
; %bb.9:
	s_load_dwordx2 s[0:1], s[4:5], 0x18
	s_waitcnt lgkmcnt(0)
	s_cmp_eq_u64 s[0:1], 0
	s_cbranch_scc1 .LBB8_11
; %bb.10:
	s_ashr_i32 s7, s6, 31
	s_lshl_b64 s[2:3], s[6:7], 2
	s_add_u32 s0, s0, s2
	s_addc_u32 s1, s1, s3
	s_load_dword s0, s[0:1], 0x0
	s_waitcnt lgkmcnt(0)
	s_sub_i32 s6, s0, s16
.LBB8_11:
	s_load_dword s17, s[4:5], 0x40
	v_lshrrev_b32_e32 v6, 5, v0
	s_waitcnt lgkmcnt(0)
	v_cmp_gt_i32_e32 vcc, s17, v6
	s_and_b64 exec, exec, vcc
	s_cbranch_execz .LBB8_30
; %bb.12:
	s_load_dwordx8 s[8:15], s[4:5], 0x20
	s_ashr_i32 s7, s6, 31
	s_lshl_b64 s[0:1], s[6:7], 2
	v_and_b32_e32 v1, 0x7fffffff, v4
	s_mul_hi_u32 s34, s17, s17
	s_waitcnt lgkmcnt(0)
	s_add_u32 s2, s8, s0
	s_addc_u32 s3, s9, s1
	s_load_dword s7, s[2:3], 0x0
	s_load_dwordx2 s[8:9], s[4:5], 0x58
	s_load_dwordx2 s[18:19], s[4:5], 0x48
	s_mul_i32 s36, s17, s17
	v_cmp_eq_u32_e32 vcc, 0, v1
	s_waitcnt lgkmcnt(0)
	s_sub_i32 s33, s7, s16
	s_add_u32 s2, s2, 4
	s_addc_u32 s3, s3, 0
	s_add_u32 s0, s10, s0
	s_addc_u32 s1, s11, s1
	s_cmp_eq_u64 s[10:11], 0
	s_cselect_b32 s1, s3, s1
	s_cselect_b32 s0, s2, s0
	s_load_dword s2, s[0:1], 0x0
	s_load_dword s3, s[4:5], 0x0
	v_cmp_eq_f32_e64 s[4:5], 0, v5
	s_mul_i32 s37, s6, s17
	s_mul_hi_u32 s6, s33, s36
	s_waitcnt lgkmcnt(0)
	s_sub_i32 s35, s2, s16
	s_cmp_lt_i32 s7, s2
	s_cselect_b64 s[26:27], -1, 0
	s_cmp_lg_u32 s3, 0
	s_cselect_b64 s[22:23], -1, 0
	s_and_b64 s[24:25], vcc, s[4:5]
	s_ashr_i32 s4, s33, 31
	s_mul_i32 s5, s33, s34
	v_and_b32_e32 v0, 31, v0
	s_add_i32 s5, s6, s5
	s_mul_i32 s4, s4, s36
	v_mov_b32_e32 v7, 0
	v_cndmask_b32_e64 v12, 0, 1, s[26:27]
	s_mov_b64 s[20:21], 0
	s_mov_b32 s10, 0
	v_cmp_gt_u32_e64 s[0:1], s17, v0
	v_cmp_eq_u32_e64 s[2:3], 31, v0
	v_xor_b32_e32 v8, 0x80000000, v3
	v_xor_b32_e32 v10, 0x80000000, v5
	v_mov_b32_e32 v9, v2
	v_mov_b32_e32 v11, v4
	s_add_i32 s38, s5, s4
	s_mul_i32 s39, s33, s36
	v_mul_lo_u32 v22, s17, v6
	s_lshl_b32 s40, s17, 5
	v_mov_b32_e32 v1, v7
	v_mul_lo_u32 v23, s17, v0
	v_cmp_ne_u32_e64 s[4:5], 1, v12
	s_branch .LBB8_14
.LBB8_13:                               ;   in Loop: Header=BB8_14 Depth=1
	s_or_b64 exec, exec, s[6:7]
	v_add_u32_e32 v6, 32, v6
	v_cmp_le_i32_e32 vcc, s17, v6
	s_or_b64 s[20:21], vcc, s[20:21]
	v_add_u32_e32 v22, s40, v22
	s_andn2_b64 exec, exec, s[20:21]
	s_cbranch_execz .LBB8_30
.LBB8_14:                               ; =>This Loop Header: Depth=1
                                        ;     Child Loop BB8_18 Depth 2
                                        ;       Child Loop BB8_21 Depth 3
	s_mov_b32 s11, s10
	s_and_b64 vcc, exec, s[4:5]
	v_pk_mov_b32 v[12:13], s[10:11], s[10:11] op_sel:[0,1]
	s_cbranch_vccnz .LBB8_25
; %bb.15:                               ;   in Loop: Header=BB8_14 Depth=1
	v_ashrrev_i32_e32 v12, 31, v22
	v_mov_b32_e32 v13, s38
	v_add_co_u32_e32 v14, vcc, s39, v22
	v_addc_co_u32_e32 v15, vcc, v13, v12, vcc
	v_pk_mov_b32 v[12:13], s[10:11], s[10:11] op_sel:[0,1]
	s_mov_b32 s6, s33
	s_branch .LBB8_18
.LBB8_16:                               ;   in Loop: Header=BB8_18 Depth=2
	s_or_b64 exec, exec, s[28:29]
.LBB8_17:                               ;   in Loop: Header=BB8_18 Depth=2
	s_or_b64 exec, exec, s[26:27]
	s_add_i32 s6, s6, 1
	v_mov_b32_e32 v16, s34
	v_add_co_u32_e32 v14, vcc, s36, v14
	s_cmp_ge_i32 s6, s35
	v_addc_co_u32_e32 v15, vcc, v15, v16, vcc
	s_cbranch_scc1 .LBB8_25
.LBB8_18:                               ;   Parent Loop BB8_14 Depth=1
                                        ; =>  This Loop Header: Depth=2
                                        ;       Child Loop BB8_21 Depth 3
	s_and_saveexec_b64 s[26:27], s[0:1]
	s_cbranch_execz .LBB8_17
; %bb.19:                               ;   in Loop: Header=BB8_18 Depth=2
	s_ashr_i32 s7, s6, 31
	s_lshl_b64 s[28:29], s[6:7], 2
	s_add_u32 s28, s12, s28
	s_addc_u32 s29, s13, s29
	s_load_dword s11, s[28:29], 0x0
	s_mul_i32 s28, s34, s6
	v_mov_b32_e32 v16, s6
	s_mul_i32 s7, s36, s7
	s_add_i32 s7, s7, s28
	s_waitcnt lgkmcnt(0)
	s_sub_i32 s11, s11, s16
	v_mad_u64_u32 v[16:17], s[28:29], s36, v16, v[6:7]
	v_add_u32_e32 v17, s7, v17
	s_mul_i32 s7, s11, s17
	s_mov_b64 s[28:29], 0
	v_mov_b32_e32 v24, v23
	v_pk_mov_b32 v[18:19], v[0:1], v[0:1] op_sel:[0,1]
	s_branch .LBB8_21
.LBB8_20:                               ;   in Loop: Header=BB8_21 Depth=3
	v_lshlrev_b64 v[20:21], 3, v[20:21]
	v_add_u32_e32 v26, s7, v18
	v_mov_b32_e32 v25, s15
	v_add_co_u32_e32 v20, vcc, s14, v20
	v_ashrrev_i32_e32 v27, 31, v26
	v_addc_co_u32_e32 v21, vcc, v25, v21, vcc
	v_lshlrev_b64 v[26:27], 3, v[26:27]
	v_mov_b32_e32 v25, s19
	v_add_co_u32_e32 v26, vcc, s18, v26
	v_addc_co_u32_e32 v27, vcc, v25, v27, vcc
	global_load_dwordx2 v[28:29], v[20:21], off
	global_load_dwordx2 v[30:31], v[26:27], off
	v_add_co_u32_e32 v18, vcc, 32, v18
	v_addc_co_u32_e32 v19, vcc, 0, v19, vcc
	v_cmp_le_i32_e32 vcc, s17, v18
	s_or_b64 s[28:29], vcc, s[28:29]
	v_add_u32_e32 v24, s40, v24
	s_waitcnt vmcnt(0)
	v_pk_fma_f32 v[12:13], v[28:29], v[30:31], v[12:13] op_sel_hi:[1,0,1]
	v_pk_fma_f32 v[12:13], v[28:29], v[30:31], v[12:13] op_sel:[1,1,0] op_sel_hi:[0,1,1] neg_lo:[1,0,0]
	s_andn2_b64 exec, exec, s[28:29]
	s_cbranch_execz .LBB8_16
.LBB8_21:                               ;   Parent Loop BB8_14 Depth=1
                                        ;     Parent Loop BB8_18 Depth=2
                                        ; =>    This Inner Loop Header: Depth=3
	s_and_b64 vcc, exec, s[22:23]
	s_cbranch_vccz .LBB8_23
; %bb.22:                               ;   in Loop: Header=BB8_21 Depth=3
	v_ashrrev_i32_e32 v21, 31, v24
	v_add_co_u32_e32 v20, vcc, v16, v24
	v_addc_co_u32_e32 v21, vcc, v17, v21, vcc
	s_cbranch_execnz .LBB8_20
	s_branch .LBB8_24
.LBB8_23:                               ;   in Loop: Header=BB8_21 Depth=3
                                        ; implicit-def: $vgpr20_vgpr21
.LBB8_24:                               ;   in Loop: Header=BB8_21 Depth=3
	v_add_co_u32_e32 v20, vcc, v14, v18
	v_addc_co_u32_e32 v21, vcc, v15, v19, vcc
	s_branch .LBB8_20
.LBB8_25:                               ;   in Loop: Header=BB8_14 Depth=1
	s_nop 0
	v_mov_b32_dpp v14, v12 row_shr:1 row_mask:0xf bank_mask:0xf
	v_mov_b32_dpp v15, v13 row_shr:1 row_mask:0xf bank_mask:0xf
	v_add_f32_e32 v12, v12, v14
	v_add_f32_e32 v13, v13, v15
	s_nop 0
	v_mov_b32_dpp v14, v12 row_shr:2 row_mask:0xf bank_mask:0xf
	v_mov_b32_dpp v15, v13 row_shr:2 row_mask:0xf bank_mask:0xf
	v_add_f32_e32 v12, v12, v14
	v_add_f32_e32 v13, v13, v15
	;; [unrolled: 5-line block ×4, first 2 shown]
	s_nop 0
	v_mov_b32_dpp v14, v12 row_bcast:15 row_mask:0xa bank_mask:0xf
	v_mov_b32_dpp v15, v13 row_bcast:15 row_mask:0xa bank_mask:0xf
	s_and_saveexec_b64 s[6:7], s[2:3]
	s_cbranch_execz .LBB8_13
; %bb.26:                               ;   in Loop: Header=BB8_14 Depth=1
	v_add_u32_e32 v16, s37, v6
	v_add_f32_e32 v12, v12, v14
	v_add_f32_e32 v14, v13, v15
	v_ashrrev_i32_e32 v17, 31, v16
	s_and_saveexec_b64 s[26:27], s[24:25]
	s_xor_b64 s[26:27], exec, s[26:27]
	s_cbranch_execz .LBB8_28
; %bb.27:                               ;   in Loop: Header=BB8_14 Depth=1
	v_lshlrev_b64 v[16:17], 3, v[16:17]
	v_mov_b32_e32 v13, s9
	v_add_co_u32_e32 v16, vcc, s8, v16
	v_pk_mul_f32 v[14:15], v[14:15], v[8:9] op_sel_hi:[0,1]
	v_addc_co_u32_e32 v17, vcc, v13, v17, vcc
	v_pk_fma_f32 v[12:13], v[2:3], v[12:13], v[14:15] op_sel_hi:[1,0,1]
	global_store_dwordx2 v[16:17], v[12:13], off
                                        ; implicit-def: $vgpr16
                                        ; implicit-def: $vgpr14
                                        ; implicit-def: $vgpr12
.LBB8_28:                               ;   in Loop: Header=BB8_14 Depth=1
	s_andn2_saveexec_b64 s[26:27], s[26:27]
	s_cbranch_execz .LBB8_13
; %bb.29:                               ;   in Loop: Header=BB8_14 Depth=1
	v_lshlrev_b64 v[16:17], 3, v[16:17]
	v_mov_b32_e32 v13, s9
	v_add_co_u32_e32 v16, vcc, s8, v16
	v_addc_co_u32_e32 v17, vcc, v13, v17, vcc
	global_load_dwordx2 v[18:19], v[16:17], off
	v_pk_mul_f32 v[14:15], v[14:15], v[8:9] op_sel_hi:[0,1]
	v_pk_fma_f32 v[12:13], v[2:3], v[12:13], v[14:15] op_sel_hi:[1,0,1]
	s_waitcnt vmcnt(0)
	v_pk_fma_f32 v[12:13], v[4:5], v[18:19], v[12:13] op_sel_hi:[1,0,1]
	v_pk_fma_f32 v[12:13], v[10:11], v[18:19], v[12:13] op_sel:[0,1,0]
	global_store_dwordx2 v[16:17], v[12:13], off
	s_branch .LBB8_13
.LBB8_30:
	s_endpgm
.LBB8_31:
	v_pk_mov_b32 v[4:5], s[8:9], s[8:9] op_sel:[0,1]
	flat_load_dword v3, v[4:5] offset:4
	s_and_b64 vcc, exec, s[0:1]
	v_mov_b32_e32 v4, s2
	s_cbranch_vccnz .LBB8_4
.LBB8_32:
	v_pk_mov_b32 v[4:5], s[2:3], s[2:3] op_sel:[0,1]
	flat_load_dword v4, v[4:5]
	s_and_b64 vcc, exec, s[0:1]
	v_mov_b32_e32 v5, s3
	s_cbranch_vccz .LBB8_5
	s_branch .LBB8_6
	.section	.rodata,"a",@progbits
	.p2align	6, 0x0
	.amdhsa_kernel _ZN9rocsparseL22bsrxmvn_general_kernelILj1024ELj32E21rocsparse_complex_numIfEiiS2_S2_S2_EEv20rocsparse_direction_NS_24const_host_device_scalarIT1_EET3_PKS7_PKT2_SC_S9_PKT4_S7_PKT5_S6_PT6_21rocsparse_index_base_b
		.amdhsa_group_segment_fixed_size 0
		.amdhsa_private_segment_fixed_size 0
		.amdhsa_kernarg_size 104
		.amdhsa_user_sgpr_count 6
		.amdhsa_user_sgpr_private_segment_buffer 1
		.amdhsa_user_sgpr_dispatch_ptr 0
		.amdhsa_user_sgpr_queue_ptr 0
		.amdhsa_user_sgpr_kernarg_segment_ptr 1
		.amdhsa_user_sgpr_dispatch_id 0
		.amdhsa_user_sgpr_flat_scratch_init 0
		.amdhsa_user_sgpr_kernarg_preload_length 0
		.amdhsa_user_sgpr_kernarg_preload_offset 0
		.amdhsa_user_sgpr_private_segment_size 0
		.amdhsa_uses_dynamic_stack 0
		.amdhsa_system_sgpr_private_segment_wavefront_offset 0
		.amdhsa_system_sgpr_workgroup_id_x 1
		.amdhsa_system_sgpr_workgroup_id_y 0
		.amdhsa_system_sgpr_workgroup_id_z 0
		.amdhsa_system_sgpr_workgroup_info 0
		.amdhsa_system_vgpr_workitem_id 0
		.amdhsa_next_free_vgpr 32
		.amdhsa_next_free_sgpr 41
		.amdhsa_accum_offset 32
		.amdhsa_reserve_vcc 1
		.amdhsa_reserve_flat_scratch 0
		.amdhsa_float_round_mode_32 0
		.amdhsa_float_round_mode_16_64 0
		.amdhsa_float_denorm_mode_32 3
		.amdhsa_float_denorm_mode_16_64 3
		.amdhsa_dx10_clamp 1
		.amdhsa_ieee_mode 1
		.amdhsa_fp16_overflow 0
		.amdhsa_tg_split 0
		.amdhsa_exception_fp_ieee_invalid_op 0
		.amdhsa_exception_fp_denorm_src 0
		.amdhsa_exception_fp_ieee_div_zero 0
		.amdhsa_exception_fp_ieee_overflow 0
		.amdhsa_exception_fp_ieee_underflow 0
		.amdhsa_exception_fp_ieee_inexact 0
		.amdhsa_exception_int_div_zero 0
	.end_amdhsa_kernel
	.section	.text._ZN9rocsparseL22bsrxmvn_general_kernelILj1024ELj32E21rocsparse_complex_numIfEiiS2_S2_S2_EEv20rocsparse_direction_NS_24const_host_device_scalarIT1_EET3_PKS7_PKT2_SC_S9_PKT4_S7_PKT5_S6_PT6_21rocsparse_index_base_b,"axG",@progbits,_ZN9rocsparseL22bsrxmvn_general_kernelILj1024ELj32E21rocsparse_complex_numIfEiiS2_S2_S2_EEv20rocsparse_direction_NS_24const_host_device_scalarIT1_EET3_PKS7_PKT2_SC_S9_PKT4_S7_PKT5_S6_PT6_21rocsparse_index_base_b,comdat
.Lfunc_end8:
	.size	_ZN9rocsparseL22bsrxmvn_general_kernelILj1024ELj32E21rocsparse_complex_numIfEiiS2_S2_S2_EEv20rocsparse_direction_NS_24const_host_device_scalarIT1_EET3_PKS7_PKT2_SC_S9_PKT4_S7_PKT5_S6_PT6_21rocsparse_index_base_b, .Lfunc_end8-_ZN9rocsparseL22bsrxmvn_general_kernelILj1024ELj32E21rocsparse_complex_numIfEiiS2_S2_S2_EEv20rocsparse_direction_NS_24const_host_device_scalarIT1_EET3_PKS7_PKT2_SC_S9_PKT4_S7_PKT5_S6_PT6_21rocsparse_index_base_b
                                        ; -- End function
	.section	.AMDGPU.csdata,"",@progbits
; Kernel info:
; codeLenInByte = 1300
; NumSgprs: 45
; NumVgprs: 32
; NumAgprs: 0
; TotalNumVgprs: 32
; ScratchSize: 0
; MemoryBound: 0
; FloatMode: 240
; IeeeMode: 1
; LDSByteSize: 0 bytes/workgroup (compile time only)
; SGPRBlocks: 5
; VGPRBlocks: 3
; NumSGPRsForWavesPerEU: 45
; NumVGPRsForWavesPerEU: 32
; AccumOffset: 32
; Occupancy: 8
; WaveLimiterHint : 1
; COMPUTE_PGM_RSRC2:SCRATCH_EN: 0
; COMPUTE_PGM_RSRC2:USER_SGPR: 6
; COMPUTE_PGM_RSRC2:TRAP_HANDLER: 0
; COMPUTE_PGM_RSRC2:TGID_X_EN: 1
; COMPUTE_PGM_RSRC2:TGID_Y_EN: 0
; COMPUTE_PGM_RSRC2:TGID_Z_EN: 0
; COMPUTE_PGM_RSRC2:TIDIG_COMP_CNT: 0
; COMPUTE_PGM_RSRC3_GFX90A:ACCUM_OFFSET: 7
; COMPUTE_PGM_RSRC3_GFX90A:TG_SPLIT: 0
	.section	.text._ZN9rocsparseL22bsrxmvn_general_kernelILj64ELj8E21rocsparse_complex_numIdEiiS2_S2_S2_EEv20rocsparse_direction_NS_24const_host_device_scalarIT1_EET3_PKS7_PKT2_SC_S9_PKT4_S7_PKT5_S6_PT6_21rocsparse_index_base_b,"axG",@progbits,_ZN9rocsparseL22bsrxmvn_general_kernelILj64ELj8E21rocsparse_complex_numIdEiiS2_S2_S2_EEv20rocsparse_direction_NS_24const_host_device_scalarIT1_EET3_PKS7_PKT2_SC_S9_PKT4_S7_PKT5_S6_PT6_21rocsparse_index_base_b,comdat
	.globl	_ZN9rocsparseL22bsrxmvn_general_kernelILj64ELj8E21rocsparse_complex_numIdEiiS2_S2_S2_EEv20rocsparse_direction_NS_24const_host_device_scalarIT1_EET3_PKS7_PKT2_SC_S9_PKT4_S7_PKT5_S6_PT6_21rocsparse_index_base_b ; -- Begin function _ZN9rocsparseL22bsrxmvn_general_kernelILj64ELj8E21rocsparse_complex_numIdEiiS2_S2_S2_EEv20rocsparse_direction_NS_24const_host_device_scalarIT1_EET3_PKS7_PKT2_SC_S9_PKT4_S7_PKT5_S6_PT6_21rocsparse_index_base_b
	.p2align	8
	.type	_ZN9rocsparseL22bsrxmvn_general_kernelILj64ELj8E21rocsparse_complex_numIdEiiS2_S2_S2_EEv20rocsparse_direction_NS_24const_host_device_scalarIT1_EET3_PKS7_PKT2_SC_S9_PKT4_S7_PKT5_S6_PT6_21rocsparse_index_base_b,@function
_ZN9rocsparseL22bsrxmvn_general_kernelILj64ELj8E21rocsparse_complex_numIdEiiS2_S2_S2_EEv20rocsparse_direction_NS_24const_host_device_scalarIT1_EET3_PKS7_PKT2_SC_S9_PKT4_S7_PKT5_S6_PT6_21rocsparse_index_base_b: ; @_ZN9rocsparseL22bsrxmvn_general_kernelILj64ELj8E21rocsparse_complex_numIdEiiS2_S2_S2_EEv20rocsparse_direction_NS_24const_host_device_scalarIT1_EET3_PKS7_PKT2_SC_S9_PKT4_S7_PKT5_S6_PT6_21rocsparse_index_base_b
; %bb.0:
	s_load_dwordx2 s[10:11], s[6:7], 0x70
	s_load_dwordx4 s[12:15], s[6:7], 0x8
	s_load_dwordx2 s[20:21], s[4:5], 0x4
	s_load_dwordx4 s[16:19], s[6:7], 0x58
	s_mov_b64 s[2:3], src_shared_base
	v_bfe_u32 v2, v0, 10, 10
	s_waitcnt lgkmcnt(0)
	s_bitcmp1_b32 s11, 0
	s_cselect_b64 s[0:1], -1, 0
	s_and_b64 vcc, s[0:1], exec
	s_cselect_b32 s2, s3, s13
	s_lshr_b32 s4, s20, 16
	v_and_b32_e32 v1, 0x3ff, v0
	s_mul_i32 s4, s4, s21
	v_mul_u32_u24_e32 v2, s21, v2
	v_mad_u32_u24 v2, s4, v1, v2
	v_bfe_u32 v0, v0, 20, 10
	v_add_lshl_u32 v0, v2, v0, 3
	v_mov_b32_e32 v6, s12
	v_add_u32_e32 v7, 0x200, v0
	v_pk_mov_b32 v[2:3], s[12:13], s[12:13] op_sel:[0,1]
	v_pk_mov_b32 v[4:5], s[16:17], s[16:17] op_sel:[0,1]
	ds_write2st64_b64 v0, v[4:5], v[2:3] offset1:1
	v_cndmask_b32_e64 v2, v6, v7, s[0:1]
	v_mov_b32_e32 v3, s2
	flat_load_dwordx2 v[4:5], v[2:3]
	s_xor_b64 s[4:5], s[0:1], -1
	v_pk_mov_b32 v[6:7], s[14:15], s[14:15] op_sel:[0,1]
	s_cbranch_vccnz .LBB9_2
; %bb.1:
	v_pk_mov_b32 v[2:3], s[12:13], s[12:13] op_sel:[0,1]
	flat_load_dwordx2 v[6:7], v[2:3] offset:8
.LBB9_2:
	s_and_b64 s[12:13], s[0:1], exec
	s_cselect_b32 s2, s3, s17
	v_mov_b32_e32 v2, s16
	v_cndmask_b32_e64 v2, v2, v0, s[0:1]
	v_mov_b32_e32 v3, s2
	flat_load_dwordx2 v[8:9], v[2:3]
	s_andn2_b64 vcc, exec, s[4:5]
	v_pk_mov_b32 v[10:11], s[18:19], s[18:19] op_sel:[0,1]
	s_cbranch_vccnz .LBB9_4
; %bb.3:
	v_pk_mov_b32 v[2:3], s[16:17], s[16:17] op_sel:[0,1]
	flat_load_dwordx2 v[10:11], v[2:3] offset:8
.LBB9_4:
	s_waitcnt vmcnt(0) lgkmcnt(0)
	v_cmp_eq_f64_e32 vcc, 0, v[4:5]
	v_cmp_eq_f64_e64 s[0:1], 0, v[6:7]
	s_and_b64 s[4:5], vcc, s[0:1]
	s_mov_b64 s[0:1], -1
	s_and_saveexec_b64 s[2:3], s[4:5]
; %bb.5:
	v_cmp_neq_f64_e32 vcc, 1.0, v[8:9]
	v_cmp_neq_f64_e64 s[0:1], 0, v[10:11]
	s_or_b64 s[0:1], vcc, s[0:1]
	s_orn2_b64 s[0:1], s[0:1], exec
; %bb.6:
	s_or_b64 exec, exec, s[2:3]
	s_and_saveexec_b64 s[2:3], s[0:1]
	s_cbranch_execz .LBB9_28
; %bb.7:
	s_load_dwordx2 s[0:1], s[6:7], 0x20
	s_waitcnt lgkmcnt(0)
	s_cmp_eq_u64 s[0:1], 0
	s_cbranch_scc1 .LBB9_9
; %bb.8:
	s_ashr_i32 s9, s8, 31
	s_lshl_b64 s[2:3], s[8:9], 2
	s_add_u32 s0, s0, s2
	s_addc_u32 s1, s1, s3
	s_load_dword s0, s[0:1], 0x0
	s_waitcnt lgkmcnt(0)
	s_sub_i32 s8, s0, s10
.LBB9_9:
	s_load_dword s11, s[6:7], 0x48
	v_lshrrev_b32_e32 v12, 3, v1
	s_waitcnt lgkmcnt(0)
	v_cmp_gt_i32_e32 vcc, s11, v12
	s_and_b64 exec, exec, vcc
	s_cbranch_execz .LBB9_28
; %bb.10:
	s_load_dwordx8 s[12:19], s[6:7], 0x28
	s_ashr_i32 s9, s8, 31
	s_lshl_b64 s[0:1], s[8:9], 2
	s_mul_hi_u32 s31, s11, s11
	s_mul_i32 s33, s11, s11
	s_waitcnt lgkmcnt(0)
	s_add_u32 s2, s12, s0
	s_addc_u32 s3, s13, s1
	s_load_dword s4, s[2:3], 0x0
	s_load_dwordx2 s[12:13], s[6:7], 0x68
	s_load_dwordx2 s[20:21], s[6:7], 0x50
	v_cmp_eq_f64_e32 vcc, 0, v[8:9]
	s_mul_i32 s35, s8, s11
	s_waitcnt lgkmcnt(0)
	s_sub_i32 s30, s4, s10
	s_add_u32 s2, s2, 4
	s_addc_u32 s3, s3, 0
	s_add_u32 s0, s14, s0
	s_addc_u32 s1, s15, s1
	s_cmp_eq_u64 s[14:15], 0
	s_cselect_b32 s1, s3, s1
	s_cselect_b32 s0, s2, s0
	s_load_dword s2, s[0:1], 0x0
	s_load_dword s3, s[6:7], 0x0
	s_mul_hi_u32 s8, s30, s33
	v_and_b32_e32 v14, 7, v1
	s_mov_b64 s[22:23], 0
	s_waitcnt lgkmcnt(0)
	s_sub_i32 s34, s2, s10
	s_cmp_lt_i32 s4, s2
	s_cselect_b64 s[24:25], -1, 0
	s_cmp_lg_u32 s3, 0
	v_cmp_eq_f64_e64 s[4:5], 0, v[10:11]
	s_cselect_b64 s[6:7], -1, 0
	s_and_b64 s[14:15], vcc, s[4:5]
	s_ashr_i32 s4, s30, 31
	s_mul_i32 s5, s30, s31
	s_add_i32 s5, s8, s5
	s_mul_i32 s4, s4, s33
	v_cndmask_b32_e64 v0, 0, 1, s[24:25]
	v_cmp_gt_u32_e64 s[0:1], s11, v14
	v_cmp_eq_u32_e64 s[2:3], 7, v14
	s_add_i32 s36, s5, s4
	s_mul_i32 s37, s30, s33
	v_mul_lo_u32 v24, s11, v12
	s_lshl_b32 s38, s11, 3
	v_mov_b32_e32 v15, 0
	v_mul_lo_u32 v25, s11, v14
	v_cmp_ne_u32_e64 s[4:5], 1, v0
	s_branch .LBB9_12
.LBB9_11:                               ;   in Loop: Header=BB9_12 Depth=1
	s_or_b64 exec, exec, s[8:9]
	v_add_u32_e32 v12, 8, v12
	v_cmp_le_i32_e32 vcc, s11, v12
	s_or_b64 s[22:23], vcc, s[22:23]
	v_add_u32_e32 v24, s38, v24
	s_andn2_b64 exec, exec, s[22:23]
	s_cbranch_execz .LBB9_28
.LBB9_12:                               ; =>This Loop Header: Depth=1
                                        ;     Child Loop BB9_16 Depth 2
                                        ;       Child Loop BB9_19 Depth 3
	v_pk_mov_b32 v[0:1], 0, 0
	s_and_b64 vcc, exec, s[4:5]
	v_pk_mov_b32 v[2:3], v[0:1], v[0:1] op_sel:[0,1]
	s_cbranch_vccnz .LBB9_23
; %bb.13:                               ;   in Loop: Header=BB9_12 Depth=1
	v_ashrrev_i32_e32 v0, 31, v24
	v_mov_b32_e32 v1, s36
	v_add_co_u32_e32 v16, vcc, s37, v24
	v_addc_co_u32_e32 v17, vcc, v1, v0, vcc
	v_pk_mov_b32 v[0:1], 0, 0
	v_ashrrev_i32_e32 v13, 31, v12
	s_mov_b32 s8, s30
	v_pk_mov_b32 v[2:3], v[0:1], v[0:1] op_sel:[0,1]
	s_branch .LBB9_16
.LBB9_14:                               ;   in Loop: Header=BB9_16 Depth=2
	s_or_b64 exec, exec, s[26:27]
.LBB9_15:                               ;   in Loop: Header=BB9_16 Depth=2
	s_or_b64 exec, exec, s[24:25]
	s_add_i32 s8, s8, 1
	v_mov_b32_e32 v18, s31
	v_add_co_u32_e32 v16, vcc, s33, v16
	s_cmp_ge_i32 s8, s34
	v_addc_co_u32_e32 v17, vcc, v17, v18, vcc
	s_cbranch_scc1 .LBB9_23
.LBB9_16:                               ;   Parent Loop BB9_12 Depth=1
                                        ; =>  This Loop Header: Depth=2
                                        ;       Child Loop BB9_19 Depth 3
	s_and_saveexec_b64 s[24:25], s[0:1]
	s_cbranch_execz .LBB9_15
; %bb.17:                               ;   in Loop: Header=BB9_16 Depth=2
	s_ashr_i32 s9, s8, 31
	s_lshl_b64 s[26:27], s[8:9], 2
	s_add_u32 s26, s16, s26
	s_addc_u32 s27, s17, s27
	s_load_dword s26, s[26:27], 0x0
	s_mul_i32 s27, s31, s8
	v_mov_b32_e32 v18, s8
	s_mul_i32 s9, s33, s9
	s_add_i32 s9, s9, s27
	s_waitcnt lgkmcnt(0)
	s_sub_i32 s28, s26, s10
	v_mad_u64_u32 v[18:19], s[26:27], s33, v18, v[12:13]
	v_add_u32_e32 v19, s9, v19
	s_mul_i32 s9, s28, s11
	s_mov_b64 s[26:27], 0
	v_mov_b32_e32 v26, v25
	v_pk_mov_b32 v[20:21], v[14:15], v[14:15] op_sel:[0,1]
	s_branch .LBB9_19
.LBB9_18:                               ;   in Loop: Header=BB9_19 Depth=3
	v_lshlrev_b64 v[22:23], 4, v[22:23]
	v_mov_b32_e32 v27, s19
	v_add_co_u32_e32 v22, vcc, s18, v22
	v_addc_co_u32_e32 v23, vcc, v27, v23, vcc
	global_load_dwordx4 v[28:31], v[22:23], off
	v_add_u32_e32 v22, s9, v20
	v_ashrrev_i32_e32 v23, 31, v22
	v_lshlrev_b64 v[22:23], 4, v[22:23]
	v_mov_b32_e32 v27, s21
	v_add_co_u32_e32 v22, vcc, s20, v22
	v_addc_co_u32_e32 v23, vcc, v27, v23, vcc
	global_load_dwordx4 v[32:35], v[22:23], off
	v_add_co_u32_e32 v20, vcc, 8, v20
	v_addc_co_u32_e32 v21, vcc, 0, v21, vcc
	v_cmp_le_i32_e32 vcc, s11, v20
	s_or_b64 s[26:27], vcc, s[26:27]
	v_add_u32_e32 v26, s38, v26
	s_waitcnt vmcnt(0)
	v_fmac_f64_e32 v[2:3], v[28:29], v[32:33]
	v_fmac_f64_e32 v[0:1], v[30:31], v[32:33]
	v_fma_f64 v[2:3], -v[30:31], v[34:35], v[2:3]
	v_fmac_f64_e32 v[0:1], v[28:29], v[34:35]
	s_andn2_b64 exec, exec, s[26:27]
	s_cbranch_execz .LBB9_14
.LBB9_19:                               ;   Parent Loop BB9_12 Depth=1
                                        ;     Parent Loop BB9_16 Depth=2
                                        ; =>    This Inner Loop Header: Depth=3
	s_and_b64 vcc, exec, s[6:7]
	s_cbranch_vccz .LBB9_21
; %bb.20:                               ;   in Loop: Header=BB9_19 Depth=3
	v_ashrrev_i32_e32 v23, 31, v26
	v_add_co_u32_e32 v22, vcc, v18, v26
	v_addc_co_u32_e32 v23, vcc, v19, v23, vcc
	s_cbranch_execnz .LBB9_18
	s_branch .LBB9_22
.LBB9_21:                               ;   in Loop: Header=BB9_19 Depth=3
                                        ; implicit-def: $vgpr22_vgpr23
.LBB9_22:                               ;   in Loop: Header=BB9_19 Depth=3
	v_add_co_u32_e32 v22, vcc, v16, v20
	v_addc_co_u32_e32 v23, vcc, v17, v21, vcc
	s_branch .LBB9_18
.LBB9_23:                               ;   in Loop: Header=BB9_12 Depth=1
	s_nop 0
	v_mov_b32_dpp v16, v2 row_shr:1 row_mask:0xf bank_mask:0xf
	v_mov_b32_dpp v17, v3 row_shr:1 row_mask:0xf bank_mask:0xf
	;; [unrolled: 1-line block ×4, first 2 shown]
	v_add_f64 v[2:3], v[2:3], v[16:17]
	v_add_f64 v[0:1], v[0:1], v[18:19]
	s_nop 0
	v_mov_b32_dpp v16, v2 row_shr:2 row_mask:0xf bank_mask:0xf
	v_mov_b32_dpp v17, v3 row_shr:2 row_mask:0xf bank_mask:0xf
	;; [unrolled: 1-line block ×4, first 2 shown]
	v_add_f64 v[2:3], v[2:3], v[16:17]
	v_add_f64 v[0:1], v[0:1], v[18:19]
	s_nop 0
	v_mov_b32_dpp v16, v2 row_shr:4 row_mask:0xf bank_mask:0xe
	v_mov_b32_dpp v17, v3 row_shr:4 row_mask:0xf bank_mask:0xe
	;; [unrolled: 1-line block ×4, first 2 shown]
	s_and_saveexec_b64 s[8:9], s[2:3]
	s_cbranch_execz .LBB9_11
; %bb.24:                               ;   in Loop: Header=BB9_12 Depth=1
	v_add_f64 v[20:21], v[2:3], v[16:17]
	v_add_f64 v[2:3], v[0:1], v[18:19]
	v_mul_f64 v[0:1], v[2:3], -v[6:7]
	v_mul_f64 v[2:3], v[4:5], v[2:3]
	v_add_u32_e32 v16, s35, v12
	v_fmac_f64_e32 v[0:1], v[4:5], v[20:21]
	v_fmac_f64_e32 v[2:3], v[6:7], v[20:21]
	v_ashrrev_i32_e32 v17, 31, v16
	s_and_saveexec_b64 s[24:25], s[14:15]
	s_xor_b64 s[24:25], exec, s[24:25]
	s_cbranch_execz .LBB9_26
; %bb.25:                               ;   in Loop: Header=BB9_12 Depth=1
	v_lshlrev_b64 v[16:17], 4, v[16:17]
	v_mov_b32_e32 v13, s13
	v_add_co_u32_e32 v16, vcc, s12, v16
	v_addc_co_u32_e32 v17, vcc, v13, v17, vcc
	global_store_dwordx4 v[16:17], v[0:3], off
                                        ; implicit-def: $vgpr16
                                        ; implicit-def: $vgpr0_vgpr1
.LBB9_26:                               ;   in Loop: Header=BB9_12 Depth=1
	s_andn2_saveexec_b64 s[24:25], s[24:25]
	s_cbranch_execz .LBB9_11
; %bb.27:                               ;   in Loop: Header=BB9_12 Depth=1
	v_lshlrev_b64 v[16:17], 4, v[16:17]
	v_mov_b32_e32 v13, s13
	v_add_co_u32_e32 v20, vcc, s12, v16
	v_addc_co_u32_e32 v21, vcc, v13, v17, vcc
	global_load_dwordx4 v[16:19], v[20:21], off
	s_waitcnt vmcnt(0)
	v_fmac_f64_e32 v[0:1], v[8:9], v[16:17]
	v_fmac_f64_e32 v[2:3], v[10:11], v[16:17]
	v_fma_f64 v[0:1], -v[10:11], v[18:19], v[0:1]
	v_fmac_f64_e32 v[2:3], v[8:9], v[18:19]
	global_store_dwordx4 v[20:21], v[0:3], off
	s_branch .LBB9_11
.LBB9_28:
	s_endpgm
	.section	.rodata,"a",@progbits
	.p2align	6, 0x0
	.amdhsa_kernel _ZN9rocsparseL22bsrxmvn_general_kernelILj64ELj8E21rocsparse_complex_numIdEiiS2_S2_S2_EEv20rocsparse_direction_NS_24const_host_device_scalarIT1_EET3_PKS7_PKT2_SC_S9_PKT4_S7_PKT5_S6_PT6_21rocsparse_index_base_b
		.amdhsa_group_segment_fixed_size 1024
		.amdhsa_private_segment_fixed_size 0
		.amdhsa_kernarg_size 120
		.amdhsa_user_sgpr_count 8
		.amdhsa_user_sgpr_private_segment_buffer 1
		.amdhsa_user_sgpr_dispatch_ptr 1
		.amdhsa_user_sgpr_queue_ptr 0
		.amdhsa_user_sgpr_kernarg_segment_ptr 1
		.amdhsa_user_sgpr_dispatch_id 0
		.amdhsa_user_sgpr_flat_scratch_init 0
		.amdhsa_user_sgpr_kernarg_preload_length 0
		.amdhsa_user_sgpr_kernarg_preload_offset 0
		.amdhsa_user_sgpr_private_segment_size 0
		.amdhsa_uses_dynamic_stack 0
		.amdhsa_system_sgpr_private_segment_wavefront_offset 0
		.amdhsa_system_sgpr_workgroup_id_x 1
		.amdhsa_system_sgpr_workgroup_id_y 0
		.amdhsa_system_sgpr_workgroup_id_z 0
		.amdhsa_system_sgpr_workgroup_info 0
		.amdhsa_system_vgpr_workitem_id 2
		.amdhsa_next_free_vgpr 36
		.amdhsa_next_free_sgpr 39
		.amdhsa_accum_offset 36
		.amdhsa_reserve_vcc 1
		.amdhsa_reserve_flat_scratch 0
		.amdhsa_float_round_mode_32 0
		.amdhsa_float_round_mode_16_64 0
		.amdhsa_float_denorm_mode_32 3
		.amdhsa_float_denorm_mode_16_64 3
		.amdhsa_dx10_clamp 1
		.amdhsa_ieee_mode 1
		.amdhsa_fp16_overflow 0
		.amdhsa_tg_split 0
		.amdhsa_exception_fp_ieee_invalid_op 0
		.amdhsa_exception_fp_denorm_src 0
		.amdhsa_exception_fp_ieee_div_zero 0
		.amdhsa_exception_fp_ieee_overflow 0
		.amdhsa_exception_fp_ieee_underflow 0
		.amdhsa_exception_fp_ieee_inexact 0
		.amdhsa_exception_int_div_zero 0
	.end_amdhsa_kernel
	.section	.text._ZN9rocsparseL22bsrxmvn_general_kernelILj64ELj8E21rocsparse_complex_numIdEiiS2_S2_S2_EEv20rocsparse_direction_NS_24const_host_device_scalarIT1_EET3_PKS7_PKT2_SC_S9_PKT4_S7_PKT5_S6_PT6_21rocsparse_index_base_b,"axG",@progbits,_ZN9rocsparseL22bsrxmvn_general_kernelILj64ELj8E21rocsparse_complex_numIdEiiS2_S2_S2_EEv20rocsparse_direction_NS_24const_host_device_scalarIT1_EET3_PKS7_PKT2_SC_S9_PKT4_S7_PKT5_S6_PT6_21rocsparse_index_base_b,comdat
.Lfunc_end9:
	.size	_ZN9rocsparseL22bsrxmvn_general_kernelILj64ELj8E21rocsparse_complex_numIdEiiS2_S2_S2_EEv20rocsparse_direction_NS_24const_host_device_scalarIT1_EET3_PKS7_PKT2_SC_S9_PKT4_S7_PKT5_S6_PT6_21rocsparse_index_base_b, .Lfunc_end9-_ZN9rocsparseL22bsrxmvn_general_kernelILj64ELj8E21rocsparse_complex_numIdEiiS2_S2_S2_EEv20rocsparse_direction_NS_24const_host_device_scalarIT1_EET3_PKS7_PKT2_SC_S9_PKT4_S7_PKT5_S6_PT6_21rocsparse_index_base_b
                                        ; -- End function
	.section	.AMDGPU.csdata,"",@progbits
; Kernel info:
; codeLenInByte = 1340
; NumSgprs: 43
; NumVgprs: 36
; NumAgprs: 0
; TotalNumVgprs: 36
; ScratchSize: 0
; MemoryBound: 0
; FloatMode: 240
; IeeeMode: 1
; LDSByteSize: 1024 bytes/workgroup (compile time only)
; SGPRBlocks: 5
; VGPRBlocks: 4
; NumSGPRsForWavesPerEU: 43
; NumVGPRsForWavesPerEU: 36
; AccumOffset: 36
; Occupancy: 8
; WaveLimiterHint : 1
; COMPUTE_PGM_RSRC2:SCRATCH_EN: 0
; COMPUTE_PGM_RSRC2:USER_SGPR: 8
; COMPUTE_PGM_RSRC2:TRAP_HANDLER: 0
; COMPUTE_PGM_RSRC2:TGID_X_EN: 1
; COMPUTE_PGM_RSRC2:TGID_Y_EN: 0
; COMPUTE_PGM_RSRC2:TGID_Z_EN: 0
; COMPUTE_PGM_RSRC2:TIDIG_COMP_CNT: 2
; COMPUTE_PGM_RSRC3_GFX90A:ACCUM_OFFSET: 8
; COMPUTE_PGM_RSRC3_GFX90A:TG_SPLIT: 0
	.section	.text._ZN9rocsparseL22bsrxmvn_general_kernelILj256ELj16E21rocsparse_complex_numIdEiiS2_S2_S2_EEv20rocsparse_direction_NS_24const_host_device_scalarIT1_EET3_PKS7_PKT2_SC_S9_PKT4_S7_PKT5_S6_PT6_21rocsparse_index_base_b,"axG",@progbits,_ZN9rocsparseL22bsrxmvn_general_kernelILj256ELj16E21rocsparse_complex_numIdEiiS2_S2_S2_EEv20rocsparse_direction_NS_24const_host_device_scalarIT1_EET3_PKS7_PKT2_SC_S9_PKT4_S7_PKT5_S6_PT6_21rocsparse_index_base_b,comdat
	.globl	_ZN9rocsparseL22bsrxmvn_general_kernelILj256ELj16E21rocsparse_complex_numIdEiiS2_S2_S2_EEv20rocsparse_direction_NS_24const_host_device_scalarIT1_EET3_PKS7_PKT2_SC_S9_PKT4_S7_PKT5_S6_PT6_21rocsparse_index_base_b ; -- Begin function _ZN9rocsparseL22bsrxmvn_general_kernelILj256ELj16E21rocsparse_complex_numIdEiiS2_S2_S2_EEv20rocsparse_direction_NS_24const_host_device_scalarIT1_EET3_PKS7_PKT2_SC_S9_PKT4_S7_PKT5_S6_PT6_21rocsparse_index_base_b
	.p2align	8
	.type	_ZN9rocsparseL22bsrxmvn_general_kernelILj256ELj16E21rocsparse_complex_numIdEiiS2_S2_S2_EEv20rocsparse_direction_NS_24const_host_device_scalarIT1_EET3_PKS7_PKT2_SC_S9_PKT4_S7_PKT5_S6_PT6_21rocsparse_index_base_b,@function
_ZN9rocsparseL22bsrxmvn_general_kernelILj256ELj16E21rocsparse_complex_numIdEiiS2_S2_S2_EEv20rocsparse_direction_NS_24const_host_device_scalarIT1_EET3_PKS7_PKT2_SC_S9_PKT4_S7_PKT5_S6_PT6_21rocsparse_index_base_b: ; @_ZN9rocsparseL22bsrxmvn_general_kernelILj256ELj16E21rocsparse_complex_numIdEiiS2_S2_S2_EEv20rocsparse_direction_NS_24const_host_device_scalarIT1_EET3_PKS7_PKT2_SC_S9_PKT4_S7_PKT5_S6_PT6_21rocsparse_index_base_b
; %bb.0:
	s_load_dwordx2 s[10:11], s[6:7], 0x70
	s_load_dwordx4 s[12:15], s[6:7], 0x8
	s_load_dwordx2 s[20:21], s[4:5], 0x4
	s_load_dwordx4 s[16:19], s[6:7], 0x58
	s_mov_b64 s[2:3], src_shared_base
	v_and_b32_e32 v1, 0x3ff, v0
	s_waitcnt lgkmcnt(0)
	s_bitcmp1_b32 s11, 0
	s_cselect_b64 s[0:1], -1, 0
	s_and_b64 vcc, s[0:1], exec
	s_cselect_b32 s2, s3, s13
	s_lshr_b32 s4, s20, 16
	s_mul_i32 s4, s4, s21
	v_mul_lo_u32 v2, s4, v1
	v_bfe_u32 v3, v0, 10, 10
	v_mad_u32_u24 v2, v3, s21, v2
	v_bfe_u32 v0, v0, 20, 10
	v_add_lshl_u32 v0, v2, v0, 3
	v_mov_b32_e32 v6, s12
	v_add_u32_e32 v7, 0x800, v0
	v_pk_mov_b32 v[2:3], s[12:13], s[12:13] op_sel:[0,1]
	v_pk_mov_b32 v[4:5], s[16:17], s[16:17] op_sel:[0,1]
	ds_write2st64_b64 v0, v[4:5], v[2:3] offset1:4
	v_cndmask_b32_e64 v2, v6, v7, s[0:1]
	v_mov_b32_e32 v3, s2
	flat_load_dwordx2 v[4:5], v[2:3]
	s_xor_b64 s[4:5], s[0:1], -1
	v_pk_mov_b32 v[6:7], s[14:15], s[14:15] op_sel:[0,1]
	s_cbranch_vccnz .LBB10_2
; %bb.1:
	v_pk_mov_b32 v[2:3], s[12:13], s[12:13] op_sel:[0,1]
	flat_load_dwordx2 v[6:7], v[2:3] offset:8
.LBB10_2:
	s_and_b64 s[12:13], s[0:1], exec
	s_cselect_b32 s2, s3, s17
	v_mov_b32_e32 v2, s16
	v_cndmask_b32_e64 v2, v2, v0, s[0:1]
	v_mov_b32_e32 v3, s2
	flat_load_dwordx2 v[8:9], v[2:3]
	s_andn2_b64 vcc, exec, s[4:5]
	v_pk_mov_b32 v[10:11], s[18:19], s[18:19] op_sel:[0,1]
	s_cbranch_vccnz .LBB10_4
; %bb.3:
	v_pk_mov_b32 v[2:3], s[16:17], s[16:17] op_sel:[0,1]
	flat_load_dwordx2 v[10:11], v[2:3] offset:8
.LBB10_4:
	s_waitcnt vmcnt(0) lgkmcnt(0)
	v_cmp_eq_f64_e32 vcc, 0, v[4:5]
	v_cmp_eq_f64_e64 s[0:1], 0, v[6:7]
	s_and_b64 s[4:5], vcc, s[0:1]
	s_mov_b64 s[0:1], -1
	s_and_saveexec_b64 s[2:3], s[4:5]
; %bb.5:
	v_cmp_neq_f64_e32 vcc, 1.0, v[8:9]
	v_cmp_neq_f64_e64 s[0:1], 0, v[10:11]
	s_or_b64 s[0:1], vcc, s[0:1]
	s_orn2_b64 s[0:1], s[0:1], exec
; %bb.6:
	s_or_b64 exec, exec, s[2:3]
	s_and_saveexec_b64 s[2:3], s[0:1]
	s_cbranch_execz .LBB10_28
; %bb.7:
	s_load_dwordx2 s[0:1], s[6:7], 0x20
	s_waitcnt lgkmcnt(0)
	s_cmp_eq_u64 s[0:1], 0
	s_cbranch_scc1 .LBB10_9
; %bb.8:
	s_ashr_i32 s9, s8, 31
	s_lshl_b64 s[2:3], s[8:9], 2
	s_add_u32 s0, s0, s2
	s_addc_u32 s1, s1, s3
	s_load_dword s0, s[0:1], 0x0
	s_waitcnt lgkmcnt(0)
	s_sub_i32 s8, s0, s10
.LBB10_9:
	s_load_dword s11, s[6:7], 0x48
	v_lshrrev_b32_e32 v12, 4, v1
	s_waitcnt lgkmcnt(0)
	v_cmp_gt_i32_e32 vcc, s11, v12
	s_and_b64 exec, exec, vcc
	s_cbranch_execz .LBB10_28
; %bb.10:
	s_load_dwordx8 s[12:19], s[6:7], 0x28
	s_ashr_i32 s9, s8, 31
	s_lshl_b64 s[0:1], s[8:9], 2
	s_mul_hi_u32 s31, s11, s11
	s_mul_i32 s33, s11, s11
	s_waitcnt lgkmcnt(0)
	s_add_u32 s2, s12, s0
	s_addc_u32 s3, s13, s1
	s_load_dword s4, s[2:3], 0x0
	s_load_dwordx2 s[12:13], s[6:7], 0x68
	s_load_dwordx2 s[20:21], s[6:7], 0x50
	v_cmp_eq_f64_e32 vcc, 0, v[8:9]
	s_mul_i32 s35, s8, s11
	s_waitcnt lgkmcnt(0)
	s_sub_i32 s30, s4, s10
	s_add_u32 s2, s2, 4
	s_addc_u32 s3, s3, 0
	s_add_u32 s0, s14, s0
	s_addc_u32 s1, s15, s1
	s_cmp_eq_u64 s[14:15], 0
	s_cselect_b32 s1, s3, s1
	s_cselect_b32 s0, s2, s0
	s_load_dword s2, s[0:1], 0x0
	s_load_dword s3, s[6:7], 0x0
	s_mul_hi_u32 s8, s30, s33
	v_and_b32_e32 v14, 15, v1
	s_mov_b64 s[22:23], 0
	s_waitcnt lgkmcnt(0)
	s_sub_i32 s34, s2, s10
	s_cmp_lt_i32 s4, s2
	s_cselect_b64 s[24:25], -1, 0
	s_cmp_lg_u32 s3, 0
	v_cmp_eq_f64_e64 s[4:5], 0, v[10:11]
	s_cselect_b64 s[6:7], -1, 0
	s_and_b64 s[14:15], vcc, s[4:5]
	s_ashr_i32 s4, s30, 31
	s_mul_i32 s5, s30, s31
	s_add_i32 s5, s8, s5
	s_mul_i32 s4, s4, s33
	v_cndmask_b32_e64 v0, 0, 1, s[24:25]
	v_cmp_gt_u32_e64 s[0:1], s11, v14
	v_cmp_eq_u32_e64 s[2:3], 15, v14
	s_add_i32 s36, s5, s4
	s_mul_i32 s37, s30, s33
	v_mul_lo_u32 v24, s11, v12
	s_lshl_b32 s38, s11, 4
	v_mov_b32_e32 v15, 0
	v_mul_lo_u32 v25, s11, v14
	v_cmp_ne_u32_e64 s[4:5], 1, v0
	s_branch .LBB10_12
.LBB10_11:                              ;   in Loop: Header=BB10_12 Depth=1
	s_or_b64 exec, exec, s[8:9]
	v_add_u32_e32 v12, 16, v12
	v_cmp_le_i32_e32 vcc, s11, v12
	s_or_b64 s[22:23], vcc, s[22:23]
	v_add_u32_e32 v24, s38, v24
	s_andn2_b64 exec, exec, s[22:23]
	s_cbranch_execz .LBB10_28
.LBB10_12:                              ; =>This Loop Header: Depth=1
                                        ;     Child Loop BB10_16 Depth 2
                                        ;       Child Loop BB10_19 Depth 3
	v_pk_mov_b32 v[0:1], 0, 0
	s_and_b64 vcc, exec, s[4:5]
	v_pk_mov_b32 v[2:3], v[0:1], v[0:1] op_sel:[0,1]
	s_cbranch_vccnz .LBB10_23
; %bb.13:                               ;   in Loop: Header=BB10_12 Depth=1
	v_ashrrev_i32_e32 v0, 31, v24
	v_mov_b32_e32 v1, s36
	v_add_co_u32_e32 v16, vcc, s37, v24
	v_addc_co_u32_e32 v17, vcc, v1, v0, vcc
	v_pk_mov_b32 v[0:1], 0, 0
	v_ashrrev_i32_e32 v13, 31, v12
	s_mov_b32 s8, s30
	v_pk_mov_b32 v[2:3], v[0:1], v[0:1] op_sel:[0,1]
	s_branch .LBB10_16
.LBB10_14:                              ;   in Loop: Header=BB10_16 Depth=2
	s_or_b64 exec, exec, s[26:27]
.LBB10_15:                              ;   in Loop: Header=BB10_16 Depth=2
	s_or_b64 exec, exec, s[24:25]
	s_add_i32 s8, s8, 1
	v_mov_b32_e32 v18, s31
	v_add_co_u32_e32 v16, vcc, s33, v16
	s_cmp_ge_i32 s8, s34
	v_addc_co_u32_e32 v17, vcc, v17, v18, vcc
	s_cbranch_scc1 .LBB10_23
.LBB10_16:                              ;   Parent Loop BB10_12 Depth=1
                                        ; =>  This Loop Header: Depth=2
                                        ;       Child Loop BB10_19 Depth 3
	s_and_saveexec_b64 s[24:25], s[0:1]
	s_cbranch_execz .LBB10_15
; %bb.17:                               ;   in Loop: Header=BB10_16 Depth=2
	s_ashr_i32 s9, s8, 31
	s_lshl_b64 s[26:27], s[8:9], 2
	s_add_u32 s26, s16, s26
	s_addc_u32 s27, s17, s27
	s_load_dword s26, s[26:27], 0x0
	s_mul_i32 s27, s31, s8
	v_mov_b32_e32 v18, s8
	s_mul_i32 s9, s33, s9
	s_add_i32 s9, s9, s27
	s_waitcnt lgkmcnt(0)
	s_sub_i32 s28, s26, s10
	v_mad_u64_u32 v[18:19], s[26:27], s33, v18, v[12:13]
	v_add_u32_e32 v19, s9, v19
	s_mul_i32 s9, s28, s11
	s_mov_b64 s[26:27], 0
	v_mov_b32_e32 v26, v25
	v_pk_mov_b32 v[20:21], v[14:15], v[14:15] op_sel:[0,1]
	s_branch .LBB10_19
.LBB10_18:                              ;   in Loop: Header=BB10_19 Depth=3
	v_lshlrev_b64 v[22:23], 4, v[22:23]
	v_mov_b32_e32 v27, s19
	v_add_co_u32_e32 v22, vcc, s18, v22
	v_addc_co_u32_e32 v23, vcc, v27, v23, vcc
	global_load_dwordx4 v[28:31], v[22:23], off
	v_add_u32_e32 v22, s9, v20
	v_ashrrev_i32_e32 v23, 31, v22
	v_lshlrev_b64 v[22:23], 4, v[22:23]
	v_mov_b32_e32 v27, s21
	v_add_co_u32_e32 v22, vcc, s20, v22
	v_addc_co_u32_e32 v23, vcc, v27, v23, vcc
	global_load_dwordx4 v[32:35], v[22:23], off
	v_add_co_u32_e32 v20, vcc, 16, v20
	v_addc_co_u32_e32 v21, vcc, 0, v21, vcc
	v_cmp_le_i32_e32 vcc, s11, v20
	s_or_b64 s[26:27], vcc, s[26:27]
	v_add_u32_e32 v26, s38, v26
	s_waitcnt vmcnt(0)
	v_fmac_f64_e32 v[2:3], v[28:29], v[32:33]
	v_fmac_f64_e32 v[0:1], v[30:31], v[32:33]
	v_fma_f64 v[2:3], -v[30:31], v[34:35], v[2:3]
	v_fmac_f64_e32 v[0:1], v[28:29], v[34:35]
	s_andn2_b64 exec, exec, s[26:27]
	s_cbranch_execz .LBB10_14
.LBB10_19:                              ;   Parent Loop BB10_12 Depth=1
                                        ;     Parent Loop BB10_16 Depth=2
                                        ; =>    This Inner Loop Header: Depth=3
	s_and_b64 vcc, exec, s[6:7]
	s_cbranch_vccz .LBB10_21
; %bb.20:                               ;   in Loop: Header=BB10_19 Depth=3
	v_ashrrev_i32_e32 v23, 31, v26
	v_add_co_u32_e32 v22, vcc, v18, v26
	v_addc_co_u32_e32 v23, vcc, v19, v23, vcc
	s_cbranch_execnz .LBB10_18
	s_branch .LBB10_22
.LBB10_21:                              ;   in Loop: Header=BB10_19 Depth=3
                                        ; implicit-def: $vgpr22_vgpr23
.LBB10_22:                              ;   in Loop: Header=BB10_19 Depth=3
	v_add_co_u32_e32 v22, vcc, v16, v20
	v_addc_co_u32_e32 v23, vcc, v17, v21, vcc
	s_branch .LBB10_18
.LBB10_23:                              ;   in Loop: Header=BB10_12 Depth=1
	s_nop 0
	v_mov_b32_dpp v16, v2 row_shr:1 row_mask:0xf bank_mask:0xf
	v_mov_b32_dpp v17, v3 row_shr:1 row_mask:0xf bank_mask:0xf
	v_mov_b32_dpp v18, v0 row_shr:1 row_mask:0xf bank_mask:0xf
	v_mov_b32_dpp v19, v1 row_shr:1 row_mask:0xf bank_mask:0xf
	v_add_f64 v[2:3], v[2:3], v[16:17]
	v_add_f64 v[0:1], v[0:1], v[18:19]
	s_nop 0
	v_mov_b32_dpp v16, v2 row_shr:2 row_mask:0xf bank_mask:0xf
	v_mov_b32_dpp v17, v3 row_shr:2 row_mask:0xf bank_mask:0xf
	v_mov_b32_dpp v18, v0 row_shr:2 row_mask:0xf bank_mask:0xf
	v_mov_b32_dpp v19, v1 row_shr:2 row_mask:0xf bank_mask:0xf
	v_add_f64 v[2:3], v[2:3], v[16:17]
	v_add_f64 v[0:1], v[0:1], v[18:19]
	;; [unrolled: 7-line block ×3, first 2 shown]
	s_nop 0
	v_mov_b32_dpp v16, v2 row_shr:8 row_mask:0xf bank_mask:0xc
	v_mov_b32_dpp v17, v3 row_shr:8 row_mask:0xf bank_mask:0xc
	;; [unrolled: 1-line block ×4, first 2 shown]
	s_and_saveexec_b64 s[8:9], s[2:3]
	s_cbranch_execz .LBB10_11
; %bb.24:                               ;   in Loop: Header=BB10_12 Depth=1
	v_add_f64 v[20:21], v[2:3], v[16:17]
	v_add_f64 v[2:3], v[0:1], v[18:19]
	v_mul_f64 v[0:1], v[2:3], -v[6:7]
	v_mul_f64 v[2:3], v[4:5], v[2:3]
	v_add_u32_e32 v16, s35, v12
	v_fmac_f64_e32 v[0:1], v[4:5], v[20:21]
	v_fmac_f64_e32 v[2:3], v[6:7], v[20:21]
	v_ashrrev_i32_e32 v17, 31, v16
	s_and_saveexec_b64 s[24:25], s[14:15]
	s_xor_b64 s[24:25], exec, s[24:25]
	s_cbranch_execz .LBB10_26
; %bb.25:                               ;   in Loop: Header=BB10_12 Depth=1
	v_lshlrev_b64 v[16:17], 4, v[16:17]
	v_mov_b32_e32 v13, s13
	v_add_co_u32_e32 v16, vcc, s12, v16
	v_addc_co_u32_e32 v17, vcc, v13, v17, vcc
	global_store_dwordx4 v[16:17], v[0:3], off
                                        ; implicit-def: $vgpr16
                                        ; implicit-def: $vgpr0_vgpr1
.LBB10_26:                              ;   in Loop: Header=BB10_12 Depth=1
	s_andn2_saveexec_b64 s[24:25], s[24:25]
	s_cbranch_execz .LBB10_11
; %bb.27:                               ;   in Loop: Header=BB10_12 Depth=1
	v_lshlrev_b64 v[16:17], 4, v[16:17]
	v_mov_b32_e32 v13, s13
	v_add_co_u32_e32 v20, vcc, s12, v16
	v_addc_co_u32_e32 v21, vcc, v13, v17, vcc
	global_load_dwordx4 v[16:19], v[20:21], off
	s_waitcnt vmcnt(0)
	v_fmac_f64_e32 v[0:1], v[8:9], v[16:17]
	v_fmac_f64_e32 v[2:3], v[10:11], v[16:17]
	v_fma_f64 v[0:1], -v[10:11], v[18:19], v[0:1]
	v_fmac_f64_e32 v[2:3], v[8:9], v[18:19]
	global_store_dwordx4 v[20:21], v[0:3], off
	s_branch .LBB10_11
.LBB10_28:
	s_endpgm
	.section	.rodata,"a",@progbits
	.p2align	6, 0x0
	.amdhsa_kernel _ZN9rocsparseL22bsrxmvn_general_kernelILj256ELj16E21rocsparse_complex_numIdEiiS2_S2_S2_EEv20rocsparse_direction_NS_24const_host_device_scalarIT1_EET3_PKS7_PKT2_SC_S9_PKT4_S7_PKT5_S6_PT6_21rocsparse_index_base_b
		.amdhsa_group_segment_fixed_size 4096
		.amdhsa_private_segment_fixed_size 0
		.amdhsa_kernarg_size 120
		.amdhsa_user_sgpr_count 8
		.amdhsa_user_sgpr_private_segment_buffer 1
		.amdhsa_user_sgpr_dispatch_ptr 1
		.amdhsa_user_sgpr_queue_ptr 0
		.amdhsa_user_sgpr_kernarg_segment_ptr 1
		.amdhsa_user_sgpr_dispatch_id 0
		.amdhsa_user_sgpr_flat_scratch_init 0
		.amdhsa_user_sgpr_kernarg_preload_length 0
		.amdhsa_user_sgpr_kernarg_preload_offset 0
		.amdhsa_user_sgpr_private_segment_size 0
		.amdhsa_uses_dynamic_stack 0
		.amdhsa_system_sgpr_private_segment_wavefront_offset 0
		.amdhsa_system_sgpr_workgroup_id_x 1
		.amdhsa_system_sgpr_workgroup_id_y 0
		.amdhsa_system_sgpr_workgroup_id_z 0
		.amdhsa_system_sgpr_workgroup_info 0
		.amdhsa_system_vgpr_workitem_id 2
		.amdhsa_next_free_vgpr 36
		.amdhsa_next_free_sgpr 39
		.amdhsa_accum_offset 36
		.amdhsa_reserve_vcc 1
		.amdhsa_reserve_flat_scratch 0
		.amdhsa_float_round_mode_32 0
		.amdhsa_float_round_mode_16_64 0
		.amdhsa_float_denorm_mode_32 3
		.amdhsa_float_denorm_mode_16_64 3
		.amdhsa_dx10_clamp 1
		.amdhsa_ieee_mode 1
		.amdhsa_fp16_overflow 0
		.amdhsa_tg_split 0
		.amdhsa_exception_fp_ieee_invalid_op 0
		.amdhsa_exception_fp_denorm_src 0
		.amdhsa_exception_fp_ieee_div_zero 0
		.amdhsa_exception_fp_ieee_overflow 0
		.amdhsa_exception_fp_ieee_underflow 0
		.amdhsa_exception_fp_ieee_inexact 0
		.amdhsa_exception_int_div_zero 0
	.end_amdhsa_kernel
	.section	.text._ZN9rocsparseL22bsrxmvn_general_kernelILj256ELj16E21rocsparse_complex_numIdEiiS2_S2_S2_EEv20rocsparse_direction_NS_24const_host_device_scalarIT1_EET3_PKS7_PKT2_SC_S9_PKT4_S7_PKT5_S6_PT6_21rocsparse_index_base_b,"axG",@progbits,_ZN9rocsparseL22bsrxmvn_general_kernelILj256ELj16E21rocsparse_complex_numIdEiiS2_S2_S2_EEv20rocsparse_direction_NS_24const_host_device_scalarIT1_EET3_PKS7_PKT2_SC_S9_PKT4_S7_PKT5_S6_PT6_21rocsparse_index_base_b,comdat
.Lfunc_end10:
	.size	_ZN9rocsparseL22bsrxmvn_general_kernelILj256ELj16E21rocsparse_complex_numIdEiiS2_S2_S2_EEv20rocsparse_direction_NS_24const_host_device_scalarIT1_EET3_PKS7_PKT2_SC_S9_PKT4_S7_PKT5_S6_PT6_21rocsparse_index_base_b, .Lfunc_end10-_ZN9rocsparseL22bsrxmvn_general_kernelILj256ELj16E21rocsparse_complex_numIdEiiS2_S2_S2_EEv20rocsparse_direction_NS_24const_host_device_scalarIT1_EET3_PKS7_PKT2_SC_S9_PKT4_S7_PKT5_S6_PT6_21rocsparse_index_base_b
                                        ; -- End function
	.section	.AMDGPU.csdata,"",@progbits
; Kernel info:
; codeLenInByte = 1396
; NumSgprs: 43
; NumVgprs: 36
; NumAgprs: 0
; TotalNumVgprs: 36
; ScratchSize: 0
; MemoryBound: 0
; FloatMode: 240
; IeeeMode: 1
; LDSByteSize: 4096 bytes/workgroup (compile time only)
; SGPRBlocks: 5
; VGPRBlocks: 4
; NumSGPRsForWavesPerEU: 43
; NumVGPRsForWavesPerEU: 36
; AccumOffset: 36
; Occupancy: 8
; WaveLimiterHint : 1
; COMPUTE_PGM_RSRC2:SCRATCH_EN: 0
; COMPUTE_PGM_RSRC2:USER_SGPR: 8
; COMPUTE_PGM_RSRC2:TRAP_HANDLER: 0
; COMPUTE_PGM_RSRC2:TGID_X_EN: 1
; COMPUTE_PGM_RSRC2:TGID_Y_EN: 0
; COMPUTE_PGM_RSRC2:TGID_Z_EN: 0
; COMPUTE_PGM_RSRC2:TIDIG_COMP_CNT: 2
; COMPUTE_PGM_RSRC3_GFX90A:ACCUM_OFFSET: 8
; COMPUTE_PGM_RSRC3_GFX90A:TG_SPLIT: 0
	.section	.text._ZN9rocsparseL22bsrxmvn_general_kernelILj1024ELj32E21rocsparse_complex_numIdEiiS2_S2_S2_EEv20rocsparse_direction_NS_24const_host_device_scalarIT1_EET3_PKS7_PKT2_SC_S9_PKT4_S7_PKT5_S6_PT6_21rocsparse_index_base_b,"axG",@progbits,_ZN9rocsparseL22bsrxmvn_general_kernelILj1024ELj32E21rocsparse_complex_numIdEiiS2_S2_S2_EEv20rocsparse_direction_NS_24const_host_device_scalarIT1_EET3_PKS7_PKT2_SC_S9_PKT4_S7_PKT5_S6_PT6_21rocsparse_index_base_b,comdat
	.globl	_ZN9rocsparseL22bsrxmvn_general_kernelILj1024ELj32E21rocsparse_complex_numIdEiiS2_S2_S2_EEv20rocsparse_direction_NS_24const_host_device_scalarIT1_EET3_PKS7_PKT2_SC_S9_PKT4_S7_PKT5_S6_PT6_21rocsparse_index_base_b ; -- Begin function _ZN9rocsparseL22bsrxmvn_general_kernelILj1024ELj32E21rocsparse_complex_numIdEiiS2_S2_S2_EEv20rocsparse_direction_NS_24const_host_device_scalarIT1_EET3_PKS7_PKT2_SC_S9_PKT4_S7_PKT5_S6_PT6_21rocsparse_index_base_b
	.p2align	8
	.type	_ZN9rocsparseL22bsrxmvn_general_kernelILj1024ELj32E21rocsparse_complex_numIdEiiS2_S2_S2_EEv20rocsparse_direction_NS_24const_host_device_scalarIT1_EET3_PKS7_PKT2_SC_S9_PKT4_S7_PKT5_S6_PT6_21rocsparse_index_base_b,@function
_ZN9rocsparseL22bsrxmvn_general_kernelILj1024ELj32E21rocsparse_complex_numIdEiiS2_S2_S2_EEv20rocsparse_direction_NS_24const_host_device_scalarIT1_EET3_PKS7_PKT2_SC_S9_PKT4_S7_PKT5_S6_PT6_21rocsparse_index_base_b: ; @_ZN9rocsparseL22bsrxmvn_general_kernelILj1024ELj32E21rocsparse_complex_numIdEiiS2_S2_S2_EEv20rocsparse_direction_NS_24const_host_device_scalarIT1_EET3_PKS7_PKT2_SC_S9_PKT4_S7_PKT5_S6_PT6_21rocsparse_index_base_b
; %bb.0:
	s_load_dwordx2 s[10:11], s[6:7], 0x70
	s_load_dwordx4 s[12:15], s[6:7], 0x8
	s_load_dwordx2 s[20:21], s[4:5], 0x4
	s_load_dwordx4 s[16:19], s[6:7], 0x58
	s_mov_b64 s[2:3], src_shared_base
	v_and_b32_e32 v1, 0x3ff, v0
	s_waitcnt lgkmcnt(0)
	s_bitcmp1_b32 s11, 0
	s_cselect_b64 s[0:1], -1, 0
	s_and_b64 vcc, s[0:1], exec
	s_cselect_b32 s2, s3, s13
	s_lshr_b32 s4, s20, 16
	s_mul_i32 s4, s4, s21
	v_mul_lo_u32 v2, s4, v1
	v_bfe_u32 v3, v0, 10, 10
	v_mad_u32_u24 v2, v3, s21, v2
	v_bfe_u32 v0, v0, 20, 10
	v_add_lshl_u32 v0, v2, v0, 3
	v_mov_b32_e32 v6, s12
	v_add_u32_e32 v7, 0x2000, v0
	v_pk_mov_b32 v[2:3], s[12:13], s[12:13] op_sel:[0,1]
	v_pk_mov_b32 v[4:5], s[16:17], s[16:17] op_sel:[0,1]
	ds_write2st64_b64 v0, v[4:5], v[2:3] offset1:16
	v_cndmask_b32_e64 v2, v6, v7, s[0:1]
	v_mov_b32_e32 v3, s2
	flat_load_dwordx2 v[4:5], v[2:3]
	s_xor_b64 s[4:5], s[0:1], -1
	v_pk_mov_b32 v[6:7], s[14:15], s[14:15] op_sel:[0,1]
	s_cbranch_vccnz .LBB11_2
; %bb.1:
	v_pk_mov_b32 v[2:3], s[12:13], s[12:13] op_sel:[0,1]
	flat_load_dwordx2 v[6:7], v[2:3] offset:8
.LBB11_2:
	s_and_b64 s[12:13], s[0:1], exec
	s_cselect_b32 s2, s3, s17
	v_mov_b32_e32 v2, s16
	v_cndmask_b32_e64 v2, v2, v0, s[0:1]
	v_mov_b32_e32 v3, s2
	flat_load_dwordx2 v[8:9], v[2:3]
	s_andn2_b64 vcc, exec, s[4:5]
	v_pk_mov_b32 v[10:11], s[18:19], s[18:19] op_sel:[0,1]
	s_cbranch_vccnz .LBB11_4
; %bb.3:
	v_pk_mov_b32 v[2:3], s[16:17], s[16:17] op_sel:[0,1]
	flat_load_dwordx2 v[10:11], v[2:3] offset:8
.LBB11_4:
	s_waitcnt vmcnt(0) lgkmcnt(0)
	v_cmp_eq_f64_e32 vcc, 0, v[4:5]
	v_cmp_eq_f64_e64 s[0:1], 0, v[6:7]
	s_and_b64 s[4:5], vcc, s[0:1]
	s_mov_b64 s[0:1], -1
	s_and_saveexec_b64 s[2:3], s[4:5]
; %bb.5:
	v_cmp_neq_f64_e32 vcc, 1.0, v[8:9]
	v_cmp_neq_f64_e64 s[0:1], 0, v[10:11]
	s_or_b64 s[0:1], vcc, s[0:1]
	s_orn2_b64 s[0:1], s[0:1], exec
; %bb.6:
	s_or_b64 exec, exec, s[2:3]
	s_and_saveexec_b64 s[2:3], s[0:1]
	s_cbranch_execz .LBB11_28
; %bb.7:
	s_load_dwordx2 s[0:1], s[6:7], 0x20
	s_waitcnt lgkmcnt(0)
	s_cmp_eq_u64 s[0:1], 0
	s_cbranch_scc1 .LBB11_9
; %bb.8:
	s_ashr_i32 s9, s8, 31
	s_lshl_b64 s[2:3], s[8:9], 2
	s_add_u32 s0, s0, s2
	s_addc_u32 s1, s1, s3
	s_load_dword s0, s[0:1], 0x0
	s_waitcnt lgkmcnt(0)
	s_sub_i32 s8, s0, s10
.LBB11_9:
	s_load_dword s11, s[6:7], 0x48
	v_lshrrev_b32_e32 v12, 5, v1
	s_waitcnt lgkmcnt(0)
	v_cmp_gt_i32_e32 vcc, s11, v12
	s_and_b64 exec, exec, vcc
	s_cbranch_execz .LBB11_28
; %bb.10:
	s_load_dwordx8 s[12:19], s[6:7], 0x28
	s_ashr_i32 s9, s8, 31
	s_lshl_b64 s[0:1], s[8:9], 2
	s_mul_hi_u32 s31, s11, s11
	s_mul_i32 s33, s11, s11
	s_waitcnt lgkmcnt(0)
	s_add_u32 s2, s12, s0
	s_addc_u32 s3, s13, s1
	s_load_dword s4, s[2:3], 0x0
	s_load_dwordx2 s[12:13], s[6:7], 0x68
	s_load_dwordx2 s[20:21], s[6:7], 0x50
	v_cmp_eq_f64_e32 vcc, 0, v[8:9]
	s_mul_i32 s35, s8, s11
	s_waitcnt lgkmcnt(0)
	s_sub_i32 s30, s4, s10
	s_add_u32 s2, s2, 4
	s_addc_u32 s3, s3, 0
	s_add_u32 s0, s14, s0
	s_addc_u32 s1, s15, s1
	s_cmp_eq_u64 s[14:15], 0
	s_cselect_b32 s1, s3, s1
	s_cselect_b32 s0, s2, s0
	s_load_dword s2, s[0:1], 0x0
	s_load_dword s3, s[6:7], 0x0
	s_mul_hi_u32 s8, s30, s33
	v_and_b32_e32 v14, 31, v1
	v_mov_b32_e32 v13, 0
	s_waitcnt lgkmcnt(0)
	s_sub_i32 s34, s2, s10
	s_cmp_lt_i32 s4, s2
	s_cselect_b64 s[24:25], -1, 0
	s_cmp_lg_u32 s3, 0
	v_cmp_eq_f64_e64 s[4:5], 0, v[10:11]
	s_cselect_b64 s[6:7], -1, 0
	s_and_b64 s[14:15], vcc, s[4:5]
	s_ashr_i32 s4, s30, 31
	s_mul_i32 s5, s30, s31
	s_add_i32 s5, s8, s5
	s_mul_i32 s4, s4, s33
	v_cndmask_b32_e64 v0, 0, 1, s[24:25]
	s_mov_b64 s[22:23], 0
	v_cmp_gt_u32_e64 s[0:1], s11, v14
	v_cmp_eq_u32_e64 s[2:3], 31, v14
	s_add_i32 s36, s5, s4
	s_mul_i32 s37, s30, s33
	v_mul_lo_u32 v24, s11, v12
	s_lshl_b32 s38, s11, 5
	v_mov_b32_e32 v15, v13
	v_mul_lo_u32 v25, s11, v14
	v_cmp_ne_u32_e64 s[4:5], 1, v0
	s_branch .LBB11_12
.LBB11_11:                              ;   in Loop: Header=BB11_12 Depth=1
	s_or_b64 exec, exec, s[8:9]
	v_add_u32_e32 v12, 32, v12
	v_cmp_le_i32_e32 vcc, s11, v12
	s_or_b64 s[22:23], vcc, s[22:23]
	v_add_u32_e32 v24, s38, v24
	s_andn2_b64 exec, exec, s[22:23]
	s_cbranch_execz .LBB11_28
.LBB11_12:                              ; =>This Loop Header: Depth=1
                                        ;     Child Loop BB11_16 Depth 2
                                        ;       Child Loop BB11_19 Depth 3
	v_pk_mov_b32 v[0:1], 0, 0
	s_and_b64 vcc, exec, s[4:5]
	v_pk_mov_b32 v[2:3], v[0:1], v[0:1] op_sel:[0,1]
	s_cbranch_vccnz .LBB11_23
; %bb.13:                               ;   in Loop: Header=BB11_12 Depth=1
	v_ashrrev_i32_e32 v0, 31, v24
	v_mov_b32_e32 v1, s36
	v_add_co_u32_e32 v16, vcc, s37, v24
	v_addc_co_u32_e32 v17, vcc, v1, v0, vcc
	v_pk_mov_b32 v[0:1], 0, 0
	s_mov_b32 s8, s30
	v_pk_mov_b32 v[2:3], v[0:1], v[0:1] op_sel:[0,1]
	s_branch .LBB11_16
.LBB11_14:                              ;   in Loop: Header=BB11_16 Depth=2
	s_or_b64 exec, exec, s[26:27]
.LBB11_15:                              ;   in Loop: Header=BB11_16 Depth=2
	s_or_b64 exec, exec, s[24:25]
	s_add_i32 s8, s8, 1
	v_mov_b32_e32 v18, s31
	v_add_co_u32_e32 v16, vcc, s33, v16
	s_cmp_ge_i32 s8, s34
	v_addc_co_u32_e32 v17, vcc, v17, v18, vcc
	s_cbranch_scc1 .LBB11_23
.LBB11_16:                              ;   Parent Loop BB11_12 Depth=1
                                        ; =>  This Loop Header: Depth=2
                                        ;       Child Loop BB11_19 Depth 3
	s_and_saveexec_b64 s[24:25], s[0:1]
	s_cbranch_execz .LBB11_15
; %bb.17:                               ;   in Loop: Header=BB11_16 Depth=2
	s_ashr_i32 s9, s8, 31
	s_lshl_b64 s[26:27], s[8:9], 2
	s_add_u32 s26, s16, s26
	s_addc_u32 s27, s17, s27
	s_load_dword s26, s[26:27], 0x0
	s_mul_i32 s27, s31, s8
	v_mov_b32_e32 v18, s8
	s_mul_i32 s9, s33, s9
	s_add_i32 s9, s9, s27
	s_waitcnt lgkmcnt(0)
	s_sub_i32 s28, s26, s10
	v_mad_u64_u32 v[18:19], s[26:27], s33, v18, v[12:13]
	v_add_u32_e32 v19, s9, v19
	s_mul_i32 s9, s28, s11
	s_mov_b64 s[26:27], 0
	v_mov_b32_e32 v26, v25
	v_pk_mov_b32 v[20:21], v[14:15], v[14:15] op_sel:[0,1]
	s_branch .LBB11_19
.LBB11_18:                              ;   in Loop: Header=BB11_19 Depth=3
	v_lshlrev_b64 v[22:23], 4, v[22:23]
	v_mov_b32_e32 v27, s19
	v_add_co_u32_e32 v22, vcc, s18, v22
	v_addc_co_u32_e32 v23, vcc, v27, v23, vcc
	global_load_dwordx4 v[28:31], v[22:23], off
	v_add_u32_e32 v22, s9, v20
	v_ashrrev_i32_e32 v23, 31, v22
	v_lshlrev_b64 v[22:23], 4, v[22:23]
	v_mov_b32_e32 v27, s21
	v_add_co_u32_e32 v22, vcc, s20, v22
	v_addc_co_u32_e32 v23, vcc, v27, v23, vcc
	global_load_dwordx4 v[32:35], v[22:23], off
	v_add_co_u32_e32 v20, vcc, 32, v20
	v_addc_co_u32_e32 v21, vcc, 0, v21, vcc
	v_cmp_le_i32_e32 vcc, s11, v20
	s_or_b64 s[26:27], vcc, s[26:27]
	v_add_u32_e32 v26, s38, v26
	s_waitcnt vmcnt(0)
	v_fmac_f64_e32 v[2:3], v[28:29], v[32:33]
	v_fmac_f64_e32 v[0:1], v[30:31], v[32:33]
	v_fma_f64 v[2:3], -v[30:31], v[34:35], v[2:3]
	v_fmac_f64_e32 v[0:1], v[28:29], v[34:35]
	s_andn2_b64 exec, exec, s[26:27]
	s_cbranch_execz .LBB11_14
.LBB11_19:                              ;   Parent Loop BB11_12 Depth=1
                                        ;     Parent Loop BB11_16 Depth=2
                                        ; =>    This Inner Loop Header: Depth=3
	s_and_b64 vcc, exec, s[6:7]
	s_cbranch_vccz .LBB11_21
; %bb.20:                               ;   in Loop: Header=BB11_19 Depth=3
	v_ashrrev_i32_e32 v23, 31, v26
	v_add_co_u32_e32 v22, vcc, v18, v26
	v_addc_co_u32_e32 v23, vcc, v19, v23, vcc
	s_cbranch_execnz .LBB11_18
	s_branch .LBB11_22
.LBB11_21:                              ;   in Loop: Header=BB11_19 Depth=3
                                        ; implicit-def: $vgpr22_vgpr23
.LBB11_22:                              ;   in Loop: Header=BB11_19 Depth=3
	v_add_co_u32_e32 v22, vcc, v16, v20
	v_addc_co_u32_e32 v23, vcc, v17, v21, vcc
	s_branch .LBB11_18
.LBB11_23:                              ;   in Loop: Header=BB11_12 Depth=1
	s_nop 0
	v_mov_b32_dpp v16, v2 row_shr:1 row_mask:0xf bank_mask:0xf
	v_mov_b32_dpp v17, v3 row_shr:1 row_mask:0xf bank_mask:0xf
	v_mov_b32_dpp v18, v0 row_shr:1 row_mask:0xf bank_mask:0xf
	v_mov_b32_dpp v19, v1 row_shr:1 row_mask:0xf bank_mask:0xf
	v_add_f64 v[2:3], v[2:3], v[16:17]
	v_add_f64 v[0:1], v[0:1], v[18:19]
	s_nop 0
	v_mov_b32_dpp v16, v2 row_shr:2 row_mask:0xf bank_mask:0xf
	v_mov_b32_dpp v17, v3 row_shr:2 row_mask:0xf bank_mask:0xf
	v_mov_b32_dpp v18, v0 row_shr:2 row_mask:0xf bank_mask:0xf
	v_mov_b32_dpp v19, v1 row_shr:2 row_mask:0xf bank_mask:0xf
	v_add_f64 v[2:3], v[2:3], v[16:17]
	v_add_f64 v[0:1], v[0:1], v[18:19]
	s_nop 0
	v_mov_b32_dpp v16, v2 row_shr:4 row_mask:0xf bank_mask:0xe
	v_mov_b32_dpp v17, v3 row_shr:4 row_mask:0xf bank_mask:0xe
	v_mov_b32_dpp v18, v0 row_shr:4 row_mask:0xf bank_mask:0xe
	v_mov_b32_dpp v19, v1 row_shr:4 row_mask:0xf bank_mask:0xe
	v_add_f64 v[2:3], v[2:3], v[16:17]
	v_add_f64 v[0:1], v[0:1], v[18:19]
	s_nop 0
	v_mov_b32_dpp v16, v2 row_shr:8 row_mask:0xf bank_mask:0xc
	v_mov_b32_dpp v17, v3 row_shr:8 row_mask:0xf bank_mask:0xc
	v_mov_b32_dpp v18, v0 row_shr:8 row_mask:0xf bank_mask:0xc
	v_mov_b32_dpp v19, v1 row_shr:8 row_mask:0xf bank_mask:0xc
	v_add_f64 v[2:3], v[2:3], v[16:17]
	v_add_f64 v[0:1], v[0:1], v[18:19]
	s_nop 0
	v_mov_b32_dpp v16, v2 row_bcast:15 row_mask:0xa bank_mask:0xf
	v_mov_b32_dpp v17, v3 row_bcast:15 row_mask:0xa bank_mask:0xf
	;; [unrolled: 1-line block ×4, first 2 shown]
	s_and_saveexec_b64 s[8:9], s[2:3]
	s_cbranch_execz .LBB11_11
; %bb.24:                               ;   in Loop: Header=BB11_12 Depth=1
	v_add_f64 v[20:21], v[2:3], v[16:17]
	v_add_f64 v[2:3], v[0:1], v[18:19]
	v_mul_f64 v[0:1], v[2:3], -v[6:7]
	v_mul_f64 v[2:3], v[4:5], v[2:3]
	v_add_u32_e32 v16, s35, v12
	v_fmac_f64_e32 v[0:1], v[4:5], v[20:21]
	v_fmac_f64_e32 v[2:3], v[6:7], v[20:21]
	v_ashrrev_i32_e32 v17, 31, v16
	s_and_saveexec_b64 s[24:25], s[14:15]
	s_xor_b64 s[24:25], exec, s[24:25]
	s_cbranch_execz .LBB11_26
; %bb.25:                               ;   in Loop: Header=BB11_12 Depth=1
	v_lshlrev_b64 v[16:17], 4, v[16:17]
	v_mov_b32_e32 v18, s13
	v_add_co_u32_e32 v16, vcc, s12, v16
	v_addc_co_u32_e32 v17, vcc, v18, v17, vcc
	global_store_dwordx4 v[16:17], v[0:3], off
                                        ; implicit-def: $vgpr16
                                        ; implicit-def: $vgpr0_vgpr1
.LBB11_26:                              ;   in Loop: Header=BB11_12 Depth=1
	s_andn2_saveexec_b64 s[24:25], s[24:25]
	s_cbranch_execz .LBB11_11
; %bb.27:                               ;   in Loop: Header=BB11_12 Depth=1
	v_lshlrev_b64 v[16:17], 4, v[16:17]
	v_mov_b32_e32 v18, s13
	v_add_co_u32_e32 v20, vcc, s12, v16
	v_addc_co_u32_e32 v21, vcc, v18, v17, vcc
	global_load_dwordx4 v[16:19], v[20:21], off
	s_waitcnt vmcnt(0)
	v_fmac_f64_e32 v[0:1], v[8:9], v[16:17]
	v_fmac_f64_e32 v[2:3], v[10:11], v[16:17]
	v_fma_f64 v[0:1], -v[10:11], v[18:19], v[0:1]
	v_fmac_f64_e32 v[2:3], v[8:9], v[18:19]
	global_store_dwordx4 v[20:21], v[0:3], off
	s_branch .LBB11_11
.LBB11_28:
	s_endpgm
	.section	.rodata,"a",@progbits
	.p2align	6, 0x0
	.amdhsa_kernel _ZN9rocsparseL22bsrxmvn_general_kernelILj1024ELj32E21rocsparse_complex_numIdEiiS2_S2_S2_EEv20rocsparse_direction_NS_24const_host_device_scalarIT1_EET3_PKS7_PKT2_SC_S9_PKT4_S7_PKT5_S6_PT6_21rocsparse_index_base_b
		.amdhsa_group_segment_fixed_size 16384
		.amdhsa_private_segment_fixed_size 0
		.amdhsa_kernarg_size 120
		.amdhsa_user_sgpr_count 8
		.amdhsa_user_sgpr_private_segment_buffer 1
		.amdhsa_user_sgpr_dispatch_ptr 1
		.amdhsa_user_sgpr_queue_ptr 0
		.amdhsa_user_sgpr_kernarg_segment_ptr 1
		.amdhsa_user_sgpr_dispatch_id 0
		.amdhsa_user_sgpr_flat_scratch_init 0
		.amdhsa_user_sgpr_kernarg_preload_length 0
		.amdhsa_user_sgpr_kernarg_preload_offset 0
		.amdhsa_user_sgpr_private_segment_size 0
		.amdhsa_uses_dynamic_stack 0
		.amdhsa_system_sgpr_private_segment_wavefront_offset 0
		.amdhsa_system_sgpr_workgroup_id_x 1
		.amdhsa_system_sgpr_workgroup_id_y 0
		.amdhsa_system_sgpr_workgroup_id_z 0
		.amdhsa_system_sgpr_workgroup_info 0
		.amdhsa_system_vgpr_workitem_id 2
		.amdhsa_next_free_vgpr 36
		.amdhsa_next_free_sgpr 39
		.amdhsa_accum_offset 36
		.amdhsa_reserve_vcc 1
		.amdhsa_reserve_flat_scratch 0
		.amdhsa_float_round_mode_32 0
		.amdhsa_float_round_mode_16_64 0
		.amdhsa_float_denorm_mode_32 3
		.amdhsa_float_denorm_mode_16_64 3
		.amdhsa_dx10_clamp 1
		.amdhsa_ieee_mode 1
		.amdhsa_fp16_overflow 0
		.amdhsa_tg_split 0
		.amdhsa_exception_fp_ieee_invalid_op 0
		.amdhsa_exception_fp_denorm_src 0
		.amdhsa_exception_fp_ieee_div_zero 0
		.amdhsa_exception_fp_ieee_overflow 0
		.amdhsa_exception_fp_ieee_underflow 0
		.amdhsa_exception_fp_ieee_inexact 0
		.amdhsa_exception_int_div_zero 0
	.end_amdhsa_kernel
	.section	.text._ZN9rocsparseL22bsrxmvn_general_kernelILj1024ELj32E21rocsparse_complex_numIdEiiS2_S2_S2_EEv20rocsparse_direction_NS_24const_host_device_scalarIT1_EET3_PKS7_PKT2_SC_S9_PKT4_S7_PKT5_S6_PT6_21rocsparse_index_base_b,"axG",@progbits,_ZN9rocsparseL22bsrxmvn_general_kernelILj1024ELj32E21rocsparse_complex_numIdEiiS2_S2_S2_EEv20rocsparse_direction_NS_24const_host_device_scalarIT1_EET3_PKS7_PKT2_SC_S9_PKT4_S7_PKT5_S6_PT6_21rocsparse_index_base_b,comdat
.Lfunc_end11:
	.size	_ZN9rocsparseL22bsrxmvn_general_kernelILj1024ELj32E21rocsparse_complex_numIdEiiS2_S2_S2_EEv20rocsparse_direction_NS_24const_host_device_scalarIT1_EET3_PKS7_PKT2_SC_S9_PKT4_S7_PKT5_S6_PT6_21rocsparse_index_base_b, .Lfunc_end11-_ZN9rocsparseL22bsrxmvn_general_kernelILj1024ELj32E21rocsparse_complex_numIdEiiS2_S2_S2_EEv20rocsparse_direction_NS_24const_host_device_scalarIT1_EET3_PKS7_PKT2_SC_S9_PKT4_S7_PKT5_S6_PT6_21rocsparse_index_base_b
                                        ; -- End function
	.section	.AMDGPU.csdata,"",@progbits
; Kernel info:
; codeLenInByte = 1448
; NumSgprs: 43
; NumVgprs: 36
; NumAgprs: 0
; TotalNumVgprs: 36
; ScratchSize: 0
; MemoryBound: 0
; FloatMode: 240
; IeeeMode: 1
; LDSByteSize: 16384 bytes/workgroup (compile time only)
; SGPRBlocks: 5
; VGPRBlocks: 4
; NumSGPRsForWavesPerEU: 43
; NumVGPRsForWavesPerEU: 36
; AccumOffset: 36
; Occupancy: 8
; WaveLimiterHint : 1
; COMPUTE_PGM_RSRC2:SCRATCH_EN: 0
; COMPUTE_PGM_RSRC2:USER_SGPR: 8
; COMPUTE_PGM_RSRC2:TRAP_HANDLER: 0
; COMPUTE_PGM_RSRC2:TGID_X_EN: 1
; COMPUTE_PGM_RSRC2:TGID_Y_EN: 0
; COMPUTE_PGM_RSRC2:TGID_Z_EN: 0
; COMPUTE_PGM_RSRC2:TIDIG_COMP_CNT: 2
; COMPUTE_PGM_RSRC3_GFX90A:ACCUM_OFFSET: 8
; COMPUTE_PGM_RSRC3_GFX90A:TG_SPLIT: 0
	.section	.text._ZN9rocsparseL22bsrxmvn_general_kernelILj64ELj8EflifffEEv20rocsparse_direction_NS_24const_host_device_scalarIT1_EET3_PKS5_PKT2_SA_S7_PKT4_S5_PKT5_S4_PT6_21rocsparse_index_base_b,"axG",@progbits,_ZN9rocsparseL22bsrxmvn_general_kernelILj64ELj8EflifffEEv20rocsparse_direction_NS_24const_host_device_scalarIT1_EET3_PKS5_PKT2_SA_S7_PKT4_S5_PKT5_S4_PT6_21rocsparse_index_base_b,comdat
	.globl	_ZN9rocsparseL22bsrxmvn_general_kernelILj64ELj8EflifffEEv20rocsparse_direction_NS_24const_host_device_scalarIT1_EET3_PKS5_PKT2_SA_S7_PKT4_S5_PKT5_S4_PT6_21rocsparse_index_base_b ; -- Begin function _ZN9rocsparseL22bsrxmvn_general_kernelILj64ELj8EflifffEEv20rocsparse_direction_NS_24const_host_device_scalarIT1_EET3_PKS5_PKT2_SA_S7_PKT4_S5_PKT5_S4_PT6_21rocsparse_index_base_b
	.p2align	8
	.type	_ZN9rocsparseL22bsrxmvn_general_kernelILj64ELj8EflifffEEv20rocsparse_direction_NS_24const_host_device_scalarIT1_EET3_PKS5_PKT2_SA_S7_PKT4_S5_PKT5_S4_PT6_21rocsparse_index_base_b,@function
_ZN9rocsparseL22bsrxmvn_general_kernelILj64ELj8EflifffEEv20rocsparse_direction_NS_24const_host_device_scalarIT1_EET3_PKS5_PKT2_SA_S7_PKT4_S5_PKT5_S4_PT6_21rocsparse_index_base_b: ; @_ZN9rocsparseL22bsrxmvn_general_kernelILj64ELj8EflifffEEv20rocsparse_direction_NS_24const_host_device_scalarIT1_EET3_PKS5_PKT2_SA_S7_PKT4_S5_PKT5_S4_PT6_21rocsparse_index_base_b
; %bb.0:
	s_load_dwordx2 s[16:17], s[4:5], 0x60
	s_load_dwordx2 s[18:19], s[4:5], 0x8
	;; [unrolled: 1-line block ×3, first 2 shown]
	s_waitcnt lgkmcnt(0)
	s_bitcmp1_b32 s17, 0
	s_cselect_b64 s[2:3], -1, 0
	s_xor_b64 s[0:1], s[2:3], -1
	s_and_b64 vcc, exec, s[2:3]
	s_cbranch_vccnz .LBB12_2
; %bb.1:
	s_load_dword s18, s[18:19], 0x0
.LBB12_2:
	s_andn2_b64 vcc, exec, s[0:1]
	s_cbranch_vccnz .LBB12_4
; %bb.3:
	s_load_dword s20, s[20:21], 0x0
.LBB12_4:
	s_waitcnt lgkmcnt(0)
	v_cmp_neq_f32_e64 s[0:1], s18, 0
	v_cmp_neq_f32_e64 s[2:3], s20, 1.0
	s_or_b64 s[0:1], s[0:1], s[2:3]
	s_andn2_b64 vcc, exec, s[0:1]
	s_cbranch_vccnz .LBB12_26
; %bb.5:
	s_load_dwordx2 s[0:1], s[4:5], 0x18
	s_waitcnt lgkmcnt(0)
	s_cmp_eq_u64 s[0:1], 0
	s_cbranch_scc1 .LBB12_7
; %bb.6:
	s_ashr_i32 s7, s6, 31
	s_lshl_b64 s[2:3], s[6:7], 2
	s_add_u32 s0, s0, s2
	s_addc_u32 s1, s1, s3
	s_load_dword s0, s[0:1], 0x0
	s_waitcnt lgkmcnt(0)
	s_sub_i32 s6, s0, s16
.LBB12_7:
	s_load_dword s17, s[4:5], 0x40
	v_lshrrev_b32_e32 v2, 3, v0
	s_waitcnt lgkmcnt(0)
	v_cmp_gt_i32_e32 vcc, s17, v2
	s_and_saveexec_b64 s[0:1], vcc
	s_cbranch_execz .LBB12_26
; %bb.8:
	s_load_dwordx8 s[8:15], s[4:5], 0x20
	s_ashr_i32 s7, s6, 31
	s_lshl_b64 s[0:1], s[6:7], 3
	s_mul_hi_u32 s19, s17, s17
	s_mul_i32 s21, s17, s17
	s_waitcnt lgkmcnt(0)
	s_add_u32 s2, s8, s0
	s_addc_u32 s3, s9, s1
	s_load_dwordx2 s[34:35], s[2:3], 0x0
	s_load_dwordx2 s[8:9], s[4:5], 0x58
	;; [unrolled: 1-line block ×3, first 2 shown]
	v_and_b32_e32 v0, 7, v0
	s_mov_b64 s[24:25], 0
	s_waitcnt lgkmcnt(0)
	s_sub_u32 s26, s34, s16
	s_subb_u32 s27, s35, 0
	s_add_u32 s2, s2, 8
	s_addc_u32 s3, s3, 0
	s_add_u32 s0, s10, s0
	s_addc_u32 s1, s11, s1
	s_cmp_eq_u64 s[10:11], 0
	s_cselect_b32 s1, s3, s1
	s_cselect_b32 s0, s2, s0
	s_load_dwordx2 s[2:3], s[0:1], 0x0
	s_load_dword s7, s[4:5], 0x0
	s_mul_i32 s4, s26, s19
	s_mul_hi_u32 s5, s26, s21
	v_cmp_gt_u32_e64 s[0:1], s17, v0
	s_waitcnt lgkmcnt(0)
	s_sub_u32 s10, s2, s16
	v_pk_mov_b32 v[4:5], s[2:3], s[2:3] op_sel:[0,1]
	s_subb_u32 s11, s3, 0
	s_cmp_lg_u32 s7, 0
	v_cmp_lt_i64_e32 vcc, s[34:35], v[4:5]
	s_cselect_b64 s[28:29], -1, 0
	s_add_i32 s4, s5, s4
	s_mul_i32 s5, s27, s21
	v_cndmask_b32_e64 v3, 0, 1, vcc
	v_cmp_eq_u32_e64 s[2:3], 7, v0
	v_cmp_eq_f32_e64 s[30:31], s20, 0
	s_mul_i32 s33, s6, s17
	s_add_i32 s40, s4, s5
	s_mul_i32 s41, s26, s21
	v_mul_lo_u32 v12, s17, v2
	s_lshl_b32 s42, s17, 3
	v_mov_b32_e32 v1, 0
	v_mul_lo_u32 v13, s17, v0
	v_cmp_ne_u32_e64 s[4:5], 1, v3
	s_branch .LBB12_10
.LBB12_9:                               ;   in Loop: Header=BB12_10 Depth=1
	s_or_b64 exec, exec, s[6:7]
	v_add_u32_e32 v2, 8, v2
	v_cmp_le_i32_e32 vcc, s17, v2
	s_or_b64 s[24:25], vcc, s[24:25]
	v_add_u32_e32 v12, s42, v12
	s_andn2_b64 exec, exec, s[24:25]
	s_cbranch_execz .LBB12_26
.LBB12_10:                              ; =>This Loop Header: Depth=1
                                        ;     Child Loop BB12_14 Depth 2
                                        ;       Child Loop BB12_17 Depth 3
	s_and_b64 vcc, exec, s[4:5]
	v_mov_b32_e32 v14, 0
	s_cbranch_vccnz .LBB12_21
; %bb.11:                               ;   in Loop: Header=BB12_10 Depth=1
	v_ashrrev_i32_e32 v3, 31, v12
	v_mov_b32_e32 v5, s40
	v_add_co_u32_e32 v4, vcc, s41, v12
	v_addc_co_u32_e32 v5, vcc, v5, v3, vcc
	v_ashrrev_i32_e32 v3, 31, v2
	v_mov_b32_e32 v14, 0
	s_mov_b64 s[6:7], s[26:27]
	s_branch .LBB12_14
.LBB12_12:                              ;   in Loop: Header=BB12_14 Depth=2
	s_or_b64 exec, exec, s[36:37]
.LBB12_13:                              ;   in Loop: Header=BB12_14 Depth=2
	s_or_b64 exec, exec, s[34:35]
	s_add_u32 s6, s6, 1
	v_mov_b32_e32 v6, s19
	v_add_co_u32_e32 v4, vcc, s21, v4
	s_addc_u32 s7, s7, 0
	v_addc_co_u32_e32 v5, vcc, v5, v6, vcc
	v_pk_mov_b32 v[6:7], s[10:11], s[10:11] op_sel:[0,1]
	v_cmp_ge_i64_e32 vcc, s[6:7], v[6:7]
	s_cbranch_vccnz .LBB12_21
.LBB12_14:                              ;   Parent Loop BB12_10 Depth=1
                                        ; =>  This Loop Header: Depth=2
                                        ;       Child Loop BB12_17 Depth 3
	s_and_saveexec_b64 s[34:35], s[0:1]
	s_cbranch_execz .LBB12_13
; %bb.15:                               ;   in Loop: Header=BB12_14 Depth=2
	s_lshl_b64 s[36:37], s[6:7], 2
	s_add_u32 s36, s12, s36
	s_addc_u32 s37, s13, s37
	s_load_dword s36, s[36:37], 0x0
	s_mul_i32 s37, s19, s6
	s_mul_i32 s38, s21, s7
	v_mov_b32_e32 v6, s6
	s_add_i32 s38, s38, s37
	s_waitcnt lgkmcnt(0)
	s_sub_i32 s39, s36, s16
	v_mad_u64_u32 v[6:7], s[36:37], s21, v6, v[2:3]
	v_add_u32_e32 v7, s38, v7
	s_mul_i32 s43, s39, s17
	s_mov_b64 s[36:37], 0
	v_mov_b32_e32 v15, v13
	v_pk_mov_b32 v[8:9], v[0:1], v[0:1] op_sel:[0,1]
	s_branch .LBB12_17
.LBB12_16:                              ;   in Loop: Header=BB12_17 Depth=3
	v_lshlrev_b64 v[10:11], 2, v[10:11]
	v_mov_b32_e32 v16, s15
	v_add_co_u32_e32 v10, vcc, s14, v10
	v_addc_co_u32_e32 v11, vcc, v16, v11, vcc
	global_load_dword v16, v[10:11], off
	v_add_u32_e32 v10, s43, v8
	v_ashrrev_i32_e32 v11, 31, v10
	v_lshlrev_b64 v[10:11], 2, v[10:11]
	v_mov_b32_e32 v17, s23
	v_add_co_u32_e32 v10, vcc, s22, v10
	v_addc_co_u32_e32 v11, vcc, v17, v11, vcc
	global_load_dword v10, v[10:11], off
	v_add_co_u32_e32 v8, vcc, 8, v8
	v_addc_co_u32_e32 v9, vcc, 0, v9, vcc
	v_cmp_le_i32_e32 vcc, s17, v8
	s_or_b64 s[36:37], vcc, s[36:37]
	v_add_u32_e32 v15, s42, v15
	s_waitcnt vmcnt(0)
	v_fmac_f32_e32 v14, v16, v10
	s_andn2_b64 exec, exec, s[36:37]
	s_cbranch_execz .LBB12_12
.LBB12_17:                              ;   Parent Loop BB12_10 Depth=1
                                        ;     Parent Loop BB12_14 Depth=2
                                        ; =>    This Inner Loop Header: Depth=3
	s_and_b64 vcc, exec, s[28:29]
	s_cbranch_vccz .LBB12_19
; %bb.18:                               ;   in Loop: Header=BB12_17 Depth=3
	v_ashrrev_i32_e32 v11, 31, v15
	v_add_co_u32_e32 v10, vcc, v6, v15
	v_addc_co_u32_e32 v11, vcc, v7, v11, vcc
	s_cbranch_execnz .LBB12_16
	s_branch .LBB12_20
.LBB12_19:                              ;   in Loop: Header=BB12_17 Depth=3
                                        ; implicit-def: $vgpr10_vgpr11
.LBB12_20:                              ;   in Loop: Header=BB12_17 Depth=3
	v_add_co_u32_e32 v10, vcc, v4, v8
	v_addc_co_u32_e32 v11, vcc, v5, v9, vcc
	s_branch .LBB12_16
.LBB12_21:                              ;   in Loop: Header=BB12_10 Depth=1
	s_nop 0
	v_mov_b32_dpp v3, v14 row_shr:1 row_mask:0xf bank_mask:0xf
	v_add_f32_e32 v3, v14, v3
	s_nop 1
	v_mov_b32_dpp v4, v3 row_shr:2 row_mask:0xf bank_mask:0xf
	v_add_f32_e32 v3, v3, v4
	s_nop 1
	v_mov_b32_dpp v4, v3 row_shr:4 row_mask:0xf bank_mask:0xe
	s_and_saveexec_b64 s[6:7], s[2:3]
	s_cbranch_execz .LBB12_9
; %bb.22:                               ;   in Loop: Header=BB12_10 Depth=1
	v_add_f32_e32 v3, v3, v4
	v_add_u32_e32 v4, s33, v2
	s_and_b64 vcc, exec, s[30:31]
	v_mul_f32_e32 v3, s18, v3
	v_ashrrev_i32_e32 v5, 31, v4
	s_cbranch_vccz .LBB12_24
; %bb.23:                               ;   in Loop: Header=BB12_10 Depth=1
	v_lshlrev_b64 v[6:7], 2, v[4:5]
	v_mov_b32_e32 v8, s9
	v_add_co_u32_e32 v6, vcc, s8, v6
	v_addc_co_u32_e32 v7, vcc, v8, v7, vcc
	global_store_dword v[6:7], v3, off
	s_cbranch_execnz .LBB12_9
	s_branch .LBB12_25
.LBB12_24:                              ;   in Loop: Header=BB12_10 Depth=1
.LBB12_25:                              ;   in Loop: Header=BB12_10 Depth=1
	v_lshlrev_b64 v[4:5], 2, v[4:5]
	v_mov_b32_e32 v6, s9
	v_add_co_u32_e32 v4, vcc, s8, v4
	v_addc_co_u32_e32 v5, vcc, v6, v5, vcc
	global_load_dword v6, v[4:5], off
	s_waitcnt vmcnt(0)
	v_fmac_f32_e32 v3, s20, v6
	global_store_dword v[4:5], v3, off
	s_branch .LBB12_9
.LBB12_26:
	s_endpgm
	.section	.rodata,"a",@progbits
	.p2align	6, 0x0
	.amdhsa_kernel _ZN9rocsparseL22bsrxmvn_general_kernelILj64ELj8EflifffEEv20rocsparse_direction_NS_24const_host_device_scalarIT1_EET3_PKS5_PKT2_SA_S7_PKT4_S5_PKT5_S4_PT6_21rocsparse_index_base_b
		.amdhsa_group_segment_fixed_size 0
		.amdhsa_private_segment_fixed_size 0
		.amdhsa_kernarg_size 104
		.amdhsa_user_sgpr_count 6
		.amdhsa_user_sgpr_private_segment_buffer 1
		.amdhsa_user_sgpr_dispatch_ptr 0
		.amdhsa_user_sgpr_queue_ptr 0
		.amdhsa_user_sgpr_kernarg_segment_ptr 1
		.amdhsa_user_sgpr_dispatch_id 0
		.amdhsa_user_sgpr_flat_scratch_init 0
		.amdhsa_user_sgpr_kernarg_preload_length 0
		.amdhsa_user_sgpr_kernarg_preload_offset 0
		.amdhsa_user_sgpr_private_segment_size 0
		.amdhsa_uses_dynamic_stack 0
		.amdhsa_system_sgpr_private_segment_wavefront_offset 0
		.amdhsa_system_sgpr_workgroup_id_x 1
		.amdhsa_system_sgpr_workgroup_id_y 0
		.amdhsa_system_sgpr_workgroup_id_z 0
		.amdhsa_system_sgpr_workgroup_info 0
		.amdhsa_system_vgpr_workitem_id 0
		.amdhsa_next_free_vgpr 18
		.amdhsa_next_free_sgpr 44
		.amdhsa_accum_offset 20
		.amdhsa_reserve_vcc 1
		.amdhsa_reserve_flat_scratch 0
		.amdhsa_float_round_mode_32 0
		.amdhsa_float_round_mode_16_64 0
		.amdhsa_float_denorm_mode_32 3
		.amdhsa_float_denorm_mode_16_64 3
		.amdhsa_dx10_clamp 1
		.amdhsa_ieee_mode 1
		.amdhsa_fp16_overflow 0
		.amdhsa_tg_split 0
		.amdhsa_exception_fp_ieee_invalid_op 0
		.amdhsa_exception_fp_denorm_src 0
		.amdhsa_exception_fp_ieee_div_zero 0
		.amdhsa_exception_fp_ieee_overflow 0
		.amdhsa_exception_fp_ieee_underflow 0
		.amdhsa_exception_fp_ieee_inexact 0
		.amdhsa_exception_int_div_zero 0
	.end_amdhsa_kernel
	.section	.text._ZN9rocsparseL22bsrxmvn_general_kernelILj64ELj8EflifffEEv20rocsparse_direction_NS_24const_host_device_scalarIT1_EET3_PKS5_PKT2_SA_S7_PKT4_S5_PKT5_S4_PT6_21rocsparse_index_base_b,"axG",@progbits,_ZN9rocsparseL22bsrxmvn_general_kernelILj64ELj8EflifffEEv20rocsparse_direction_NS_24const_host_device_scalarIT1_EET3_PKS5_PKT2_SA_S7_PKT4_S5_PKT5_S4_PT6_21rocsparse_index_base_b,comdat
.Lfunc_end12:
	.size	_ZN9rocsparseL22bsrxmvn_general_kernelILj64ELj8EflifffEEv20rocsparse_direction_NS_24const_host_device_scalarIT1_EET3_PKS5_PKT2_SA_S7_PKT4_S5_PKT5_S4_PT6_21rocsparse_index_base_b, .Lfunc_end12-_ZN9rocsparseL22bsrxmvn_general_kernelILj64ELj8EflifffEEv20rocsparse_direction_NS_24const_host_device_scalarIT1_EET3_PKS5_PKT2_SA_S7_PKT4_S5_PKT5_S4_PT6_21rocsparse_index_base_b
                                        ; -- End function
	.section	.AMDGPU.csdata,"",@progbits
; Kernel info:
; codeLenInByte = 944
; NumSgprs: 48
; NumVgprs: 18
; NumAgprs: 0
; TotalNumVgprs: 18
; ScratchSize: 0
; MemoryBound: 0
; FloatMode: 240
; IeeeMode: 1
; LDSByteSize: 0 bytes/workgroup (compile time only)
; SGPRBlocks: 5
; VGPRBlocks: 2
; NumSGPRsForWavesPerEU: 48
; NumVGPRsForWavesPerEU: 18
; AccumOffset: 20
; Occupancy: 8
; WaveLimiterHint : 1
; COMPUTE_PGM_RSRC2:SCRATCH_EN: 0
; COMPUTE_PGM_RSRC2:USER_SGPR: 6
; COMPUTE_PGM_RSRC2:TRAP_HANDLER: 0
; COMPUTE_PGM_RSRC2:TGID_X_EN: 1
; COMPUTE_PGM_RSRC2:TGID_Y_EN: 0
; COMPUTE_PGM_RSRC2:TGID_Z_EN: 0
; COMPUTE_PGM_RSRC2:TIDIG_COMP_CNT: 0
; COMPUTE_PGM_RSRC3_GFX90A:ACCUM_OFFSET: 4
; COMPUTE_PGM_RSRC3_GFX90A:TG_SPLIT: 0
	.section	.text._ZN9rocsparseL22bsrxmvn_general_kernelILj256ELj16EflifffEEv20rocsparse_direction_NS_24const_host_device_scalarIT1_EET3_PKS5_PKT2_SA_S7_PKT4_S5_PKT5_S4_PT6_21rocsparse_index_base_b,"axG",@progbits,_ZN9rocsparseL22bsrxmvn_general_kernelILj256ELj16EflifffEEv20rocsparse_direction_NS_24const_host_device_scalarIT1_EET3_PKS5_PKT2_SA_S7_PKT4_S5_PKT5_S4_PT6_21rocsparse_index_base_b,comdat
	.globl	_ZN9rocsparseL22bsrxmvn_general_kernelILj256ELj16EflifffEEv20rocsparse_direction_NS_24const_host_device_scalarIT1_EET3_PKS5_PKT2_SA_S7_PKT4_S5_PKT5_S4_PT6_21rocsparse_index_base_b ; -- Begin function _ZN9rocsparseL22bsrxmvn_general_kernelILj256ELj16EflifffEEv20rocsparse_direction_NS_24const_host_device_scalarIT1_EET3_PKS5_PKT2_SA_S7_PKT4_S5_PKT5_S4_PT6_21rocsparse_index_base_b
	.p2align	8
	.type	_ZN9rocsparseL22bsrxmvn_general_kernelILj256ELj16EflifffEEv20rocsparse_direction_NS_24const_host_device_scalarIT1_EET3_PKS5_PKT2_SA_S7_PKT4_S5_PKT5_S4_PT6_21rocsparse_index_base_b,@function
_ZN9rocsparseL22bsrxmvn_general_kernelILj256ELj16EflifffEEv20rocsparse_direction_NS_24const_host_device_scalarIT1_EET3_PKS5_PKT2_SA_S7_PKT4_S5_PKT5_S4_PT6_21rocsparse_index_base_b: ; @_ZN9rocsparseL22bsrxmvn_general_kernelILj256ELj16EflifffEEv20rocsparse_direction_NS_24const_host_device_scalarIT1_EET3_PKS5_PKT2_SA_S7_PKT4_S5_PKT5_S4_PT6_21rocsparse_index_base_b
; %bb.0:
	s_load_dwordx2 s[16:17], s[4:5], 0x60
	s_load_dwordx2 s[18:19], s[4:5], 0x8
	;; [unrolled: 1-line block ×3, first 2 shown]
	s_waitcnt lgkmcnt(0)
	s_bitcmp1_b32 s17, 0
	s_cselect_b64 s[2:3], -1, 0
	s_xor_b64 s[0:1], s[2:3], -1
	s_and_b64 vcc, exec, s[2:3]
	s_cbranch_vccnz .LBB13_2
; %bb.1:
	s_load_dword s18, s[18:19], 0x0
.LBB13_2:
	s_andn2_b64 vcc, exec, s[0:1]
	s_cbranch_vccnz .LBB13_4
; %bb.3:
	s_load_dword s20, s[20:21], 0x0
.LBB13_4:
	s_waitcnt lgkmcnt(0)
	v_cmp_neq_f32_e64 s[0:1], s18, 0
	v_cmp_neq_f32_e64 s[2:3], s20, 1.0
	s_or_b64 s[0:1], s[0:1], s[2:3]
	s_andn2_b64 vcc, exec, s[0:1]
	s_cbranch_vccnz .LBB13_26
; %bb.5:
	s_load_dwordx2 s[0:1], s[4:5], 0x18
	s_waitcnt lgkmcnt(0)
	s_cmp_eq_u64 s[0:1], 0
	s_cbranch_scc1 .LBB13_7
; %bb.6:
	s_ashr_i32 s7, s6, 31
	s_lshl_b64 s[2:3], s[6:7], 2
	s_add_u32 s0, s0, s2
	s_addc_u32 s1, s1, s3
	s_load_dword s0, s[0:1], 0x0
	s_waitcnt lgkmcnt(0)
	s_sub_i32 s6, s0, s16
.LBB13_7:
	s_load_dword s17, s[4:5], 0x40
	v_lshrrev_b32_e32 v2, 4, v0
	s_waitcnt lgkmcnt(0)
	v_cmp_gt_i32_e32 vcc, s17, v2
	s_and_saveexec_b64 s[0:1], vcc
	s_cbranch_execz .LBB13_26
; %bb.8:
	s_load_dwordx8 s[8:15], s[4:5], 0x20
	s_ashr_i32 s7, s6, 31
	s_lshl_b64 s[0:1], s[6:7], 3
	s_mul_hi_u32 s19, s17, s17
	s_mul_i32 s21, s17, s17
	s_waitcnt lgkmcnt(0)
	s_add_u32 s2, s8, s0
	s_addc_u32 s3, s9, s1
	s_load_dwordx2 s[34:35], s[2:3], 0x0
	s_load_dwordx2 s[8:9], s[4:5], 0x58
	;; [unrolled: 1-line block ×3, first 2 shown]
	v_and_b32_e32 v0, 15, v0
	s_mov_b64 s[24:25], 0
	s_waitcnt lgkmcnt(0)
	s_sub_u32 s26, s34, s16
	s_subb_u32 s27, s35, 0
	s_add_u32 s2, s2, 8
	s_addc_u32 s3, s3, 0
	s_add_u32 s0, s10, s0
	s_addc_u32 s1, s11, s1
	s_cmp_eq_u64 s[10:11], 0
	s_cselect_b32 s1, s3, s1
	s_cselect_b32 s0, s2, s0
	s_load_dwordx2 s[2:3], s[0:1], 0x0
	s_load_dword s7, s[4:5], 0x0
	s_mul_i32 s4, s26, s19
	s_mul_hi_u32 s5, s26, s21
	v_cmp_gt_u32_e64 s[0:1], s17, v0
	s_waitcnt lgkmcnt(0)
	s_sub_u32 s10, s2, s16
	v_pk_mov_b32 v[4:5], s[2:3], s[2:3] op_sel:[0,1]
	s_subb_u32 s11, s3, 0
	s_cmp_lg_u32 s7, 0
	v_cmp_lt_i64_e32 vcc, s[34:35], v[4:5]
	s_cselect_b64 s[28:29], -1, 0
	s_add_i32 s4, s5, s4
	s_mul_i32 s5, s27, s21
	v_cndmask_b32_e64 v3, 0, 1, vcc
	v_cmp_eq_u32_e64 s[2:3], 15, v0
	v_cmp_eq_f32_e64 s[30:31], s20, 0
	s_mul_i32 s33, s6, s17
	s_add_i32 s40, s4, s5
	s_mul_i32 s41, s26, s21
	v_mul_lo_u32 v12, s17, v2
	s_lshl_b32 s42, s17, 4
	v_mov_b32_e32 v1, 0
	v_mul_lo_u32 v13, s17, v0
	v_cmp_ne_u32_e64 s[4:5], 1, v3
	s_branch .LBB13_10
.LBB13_9:                               ;   in Loop: Header=BB13_10 Depth=1
	s_or_b64 exec, exec, s[6:7]
	v_add_u32_e32 v2, 16, v2
	v_cmp_le_i32_e32 vcc, s17, v2
	s_or_b64 s[24:25], vcc, s[24:25]
	v_add_u32_e32 v12, s42, v12
	s_andn2_b64 exec, exec, s[24:25]
	s_cbranch_execz .LBB13_26
.LBB13_10:                              ; =>This Loop Header: Depth=1
                                        ;     Child Loop BB13_14 Depth 2
                                        ;       Child Loop BB13_17 Depth 3
	s_and_b64 vcc, exec, s[4:5]
	v_mov_b32_e32 v14, 0
	s_cbranch_vccnz .LBB13_21
; %bb.11:                               ;   in Loop: Header=BB13_10 Depth=1
	v_ashrrev_i32_e32 v3, 31, v12
	v_mov_b32_e32 v5, s40
	v_add_co_u32_e32 v4, vcc, s41, v12
	v_addc_co_u32_e32 v5, vcc, v5, v3, vcc
	v_ashrrev_i32_e32 v3, 31, v2
	v_mov_b32_e32 v14, 0
	s_mov_b64 s[6:7], s[26:27]
	s_branch .LBB13_14
.LBB13_12:                              ;   in Loop: Header=BB13_14 Depth=2
	s_or_b64 exec, exec, s[36:37]
.LBB13_13:                              ;   in Loop: Header=BB13_14 Depth=2
	s_or_b64 exec, exec, s[34:35]
	s_add_u32 s6, s6, 1
	v_mov_b32_e32 v6, s19
	v_add_co_u32_e32 v4, vcc, s21, v4
	s_addc_u32 s7, s7, 0
	v_addc_co_u32_e32 v5, vcc, v5, v6, vcc
	v_pk_mov_b32 v[6:7], s[10:11], s[10:11] op_sel:[0,1]
	v_cmp_ge_i64_e32 vcc, s[6:7], v[6:7]
	s_cbranch_vccnz .LBB13_21
.LBB13_14:                              ;   Parent Loop BB13_10 Depth=1
                                        ; =>  This Loop Header: Depth=2
                                        ;       Child Loop BB13_17 Depth 3
	s_and_saveexec_b64 s[34:35], s[0:1]
	s_cbranch_execz .LBB13_13
; %bb.15:                               ;   in Loop: Header=BB13_14 Depth=2
	s_lshl_b64 s[36:37], s[6:7], 2
	s_add_u32 s36, s12, s36
	s_addc_u32 s37, s13, s37
	s_load_dword s36, s[36:37], 0x0
	s_mul_i32 s37, s19, s6
	s_mul_i32 s38, s21, s7
	v_mov_b32_e32 v6, s6
	s_add_i32 s38, s38, s37
	s_waitcnt lgkmcnt(0)
	s_sub_i32 s39, s36, s16
	v_mad_u64_u32 v[6:7], s[36:37], s21, v6, v[2:3]
	v_add_u32_e32 v7, s38, v7
	s_mul_i32 s43, s39, s17
	s_mov_b64 s[36:37], 0
	v_mov_b32_e32 v15, v13
	v_pk_mov_b32 v[8:9], v[0:1], v[0:1] op_sel:[0,1]
	s_branch .LBB13_17
.LBB13_16:                              ;   in Loop: Header=BB13_17 Depth=3
	v_lshlrev_b64 v[10:11], 2, v[10:11]
	v_mov_b32_e32 v16, s15
	v_add_co_u32_e32 v10, vcc, s14, v10
	v_addc_co_u32_e32 v11, vcc, v16, v11, vcc
	global_load_dword v16, v[10:11], off
	v_add_u32_e32 v10, s43, v8
	v_ashrrev_i32_e32 v11, 31, v10
	v_lshlrev_b64 v[10:11], 2, v[10:11]
	v_mov_b32_e32 v17, s23
	v_add_co_u32_e32 v10, vcc, s22, v10
	v_addc_co_u32_e32 v11, vcc, v17, v11, vcc
	global_load_dword v10, v[10:11], off
	v_add_co_u32_e32 v8, vcc, 16, v8
	v_addc_co_u32_e32 v9, vcc, 0, v9, vcc
	v_cmp_le_i32_e32 vcc, s17, v8
	s_or_b64 s[36:37], vcc, s[36:37]
	v_add_u32_e32 v15, s42, v15
	s_waitcnt vmcnt(0)
	v_fmac_f32_e32 v14, v16, v10
	s_andn2_b64 exec, exec, s[36:37]
	s_cbranch_execz .LBB13_12
.LBB13_17:                              ;   Parent Loop BB13_10 Depth=1
                                        ;     Parent Loop BB13_14 Depth=2
                                        ; =>    This Inner Loop Header: Depth=3
	s_and_b64 vcc, exec, s[28:29]
	s_cbranch_vccz .LBB13_19
; %bb.18:                               ;   in Loop: Header=BB13_17 Depth=3
	v_ashrrev_i32_e32 v11, 31, v15
	v_add_co_u32_e32 v10, vcc, v6, v15
	v_addc_co_u32_e32 v11, vcc, v7, v11, vcc
	s_cbranch_execnz .LBB13_16
	s_branch .LBB13_20
.LBB13_19:                              ;   in Loop: Header=BB13_17 Depth=3
                                        ; implicit-def: $vgpr10_vgpr11
.LBB13_20:                              ;   in Loop: Header=BB13_17 Depth=3
	v_add_co_u32_e32 v10, vcc, v4, v8
	v_addc_co_u32_e32 v11, vcc, v5, v9, vcc
	s_branch .LBB13_16
.LBB13_21:                              ;   in Loop: Header=BB13_10 Depth=1
	s_nop 0
	v_mov_b32_dpp v3, v14 row_shr:1 row_mask:0xf bank_mask:0xf
	v_add_f32_e32 v3, v14, v3
	s_nop 1
	v_mov_b32_dpp v4, v3 row_shr:2 row_mask:0xf bank_mask:0xf
	v_add_f32_e32 v3, v3, v4
	;; [unrolled: 3-line block ×3, first 2 shown]
	s_nop 1
	v_mov_b32_dpp v4, v3 row_shr:8 row_mask:0xf bank_mask:0xc
	s_and_saveexec_b64 s[6:7], s[2:3]
	s_cbranch_execz .LBB13_9
; %bb.22:                               ;   in Loop: Header=BB13_10 Depth=1
	v_add_f32_e32 v3, v3, v4
	v_add_u32_e32 v4, s33, v2
	s_and_b64 vcc, exec, s[30:31]
	v_mul_f32_e32 v3, s18, v3
	v_ashrrev_i32_e32 v5, 31, v4
	s_cbranch_vccz .LBB13_24
; %bb.23:                               ;   in Loop: Header=BB13_10 Depth=1
	v_lshlrev_b64 v[6:7], 2, v[4:5]
	v_mov_b32_e32 v8, s9
	v_add_co_u32_e32 v6, vcc, s8, v6
	v_addc_co_u32_e32 v7, vcc, v8, v7, vcc
	global_store_dword v[6:7], v3, off
	s_cbranch_execnz .LBB13_9
	s_branch .LBB13_25
.LBB13_24:                              ;   in Loop: Header=BB13_10 Depth=1
.LBB13_25:                              ;   in Loop: Header=BB13_10 Depth=1
	v_lshlrev_b64 v[4:5], 2, v[4:5]
	v_mov_b32_e32 v6, s9
	v_add_co_u32_e32 v4, vcc, s8, v4
	v_addc_co_u32_e32 v5, vcc, v6, v5, vcc
	global_load_dword v6, v[4:5], off
	s_waitcnt vmcnt(0)
	v_fmac_f32_e32 v3, s20, v6
	global_store_dword v[4:5], v3, off
	s_branch .LBB13_9
.LBB13_26:
	s_endpgm
	.section	.rodata,"a",@progbits
	.p2align	6, 0x0
	.amdhsa_kernel _ZN9rocsparseL22bsrxmvn_general_kernelILj256ELj16EflifffEEv20rocsparse_direction_NS_24const_host_device_scalarIT1_EET3_PKS5_PKT2_SA_S7_PKT4_S5_PKT5_S4_PT6_21rocsparse_index_base_b
		.amdhsa_group_segment_fixed_size 0
		.amdhsa_private_segment_fixed_size 0
		.amdhsa_kernarg_size 104
		.amdhsa_user_sgpr_count 6
		.amdhsa_user_sgpr_private_segment_buffer 1
		.amdhsa_user_sgpr_dispatch_ptr 0
		.amdhsa_user_sgpr_queue_ptr 0
		.amdhsa_user_sgpr_kernarg_segment_ptr 1
		.amdhsa_user_sgpr_dispatch_id 0
		.amdhsa_user_sgpr_flat_scratch_init 0
		.amdhsa_user_sgpr_kernarg_preload_length 0
		.amdhsa_user_sgpr_kernarg_preload_offset 0
		.amdhsa_user_sgpr_private_segment_size 0
		.amdhsa_uses_dynamic_stack 0
		.amdhsa_system_sgpr_private_segment_wavefront_offset 0
		.amdhsa_system_sgpr_workgroup_id_x 1
		.amdhsa_system_sgpr_workgroup_id_y 0
		.amdhsa_system_sgpr_workgroup_id_z 0
		.amdhsa_system_sgpr_workgroup_info 0
		.amdhsa_system_vgpr_workitem_id 0
		.amdhsa_next_free_vgpr 18
		.amdhsa_next_free_sgpr 44
		.amdhsa_accum_offset 20
		.amdhsa_reserve_vcc 1
		.amdhsa_reserve_flat_scratch 0
		.amdhsa_float_round_mode_32 0
		.amdhsa_float_round_mode_16_64 0
		.amdhsa_float_denorm_mode_32 3
		.amdhsa_float_denorm_mode_16_64 3
		.amdhsa_dx10_clamp 1
		.amdhsa_ieee_mode 1
		.amdhsa_fp16_overflow 0
		.amdhsa_tg_split 0
		.amdhsa_exception_fp_ieee_invalid_op 0
		.amdhsa_exception_fp_denorm_src 0
		.amdhsa_exception_fp_ieee_div_zero 0
		.amdhsa_exception_fp_ieee_overflow 0
		.amdhsa_exception_fp_ieee_underflow 0
		.amdhsa_exception_fp_ieee_inexact 0
		.amdhsa_exception_int_div_zero 0
	.end_amdhsa_kernel
	.section	.text._ZN9rocsparseL22bsrxmvn_general_kernelILj256ELj16EflifffEEv20rocsparse_direction_NS_24const_host_device_scalarIT1_EET3_PKS5_PKT2_SA_S7_PKT4_S5_PKT5_S4_PT6_21rocsparse_index_base_b,"axG",@progbits,_ZN9rocsparseL22bsrxmvn_general_kernelILj256ELj16EflifffEEv20rocsparse_direction_NS_24const_host_device_scalarIT1_EET3_PKS5_PKT2_SA_S7_PKT4_S5_PKT5_S4_PT6_21rocsparse_index_base_b,comdat
.Lfunc_end13:
	.size	_ZN9rocsparseL22bsrxmvn_general_kernelILj256ELj16EflifffEEv20rocsparse_direction_NS_24const_host_device_scalarIT1_EET3_PKS5_PKT2_SA_S7_PKT4_S5_PKT5_S4_PT6_21rocsparse_index_base_b, .Lfunc_end13-_ZN9rocsparseL22bsrxmvn_general_kernelILj256ELj16EflifffEEv20rocsparse_direction_NS_24const_host_device_scalarIT1_EET3_PKS5_PKT2_SA_S7_PKT4_S5_PKT5_S4_PT6_21rocsparse_index_base_b
                                        ; -- End function
	.section	.AMDGPU.csdata,"",@progbits
; Kernel info:
; codeLenInByte = 960
; NumSgprs: 48
; NumVgprs: 18
; NumAgprs: 0
; TotalNumVgprs: 18
; ScratchSize: 0
; MemoryBound: 0
; FloatMode: 240
; IeeeMode: 1
; LDSByteSize: 0 bytes/workgroup (compile time only)
; SGPRBlocks: 5
; VGPRBlocks: 2
; NumSGPRsForWavesPerEU: 48
; NumVGPRsForWavesPerEU: 18
; AccumOffset: 20
; Occupancy: 8
; WaveLimiterHint : 1
; COMPUTE_PGM_RSRC2:SCRATCH_EN: 0
; COMPUTE_PGM_RSRC2:USER_SGPR: 6
; COMPUTE_PGM_RSRC2:TRAP_HANDLER: 0
; COMPUTE_PGM_RSRC2:TGID_X_EN: 1
; COMPUTE_PGM_RSRC2:TGID_Y_EN: 0
; COMPUTE_PGM_RSRC2:TGID_Z_EN: 0
; COMPUTE_PGM_RSRC2:TIDIG_COMP_CNT: 0
; COMPUTE_PGM_RSRC3_GFX90A:ACCUM_OFFSET: 4
; COMPUTE_PGM_RSRC3_GFX90A:TG_SPLIT: 0
	.section	.text._ZN9rocsparseL22bsrxmvn_general_kernelILj1024ELj32EflifffEEv20rocsparse_direction_NS_24const_host_device_scalarIT1_EET3_PKS5_PKT2_SA_S7_PKT4_S5_PKT5_S4_PT6_21rocsparse_index_base_b,"axG",@progbits,_ZN9rocsparseL22bsrxmvn_general_kernelILj1024ELj32EflifffEEv20rocsparse_direction_NS_24const_host_device_scalarIT1_EET3_PKS5_PKT2_SA_S7_PKT4_S5_PKT5_S4_PT6_21rocsparse_index_base_b,comdat
	.globl	_ZN9rocsparseL22bsrxmvn_general_kernelILj1024ELj32EflifffEEv20rocsparse_direction_NS_24const_host_device_scalarIT1_EET3_PKS5_PKT2_SA_S7_PKT4_S5_PKT5_S4_PT6_21rocsparse_index_base_b ; -- Begin function _ZN9rocsparseL22bsrxmvn_general_kernelILj1024ELj32EflifffEEv20rocsparse_direction_NS_24const_host_device_scalarIT1_EET3_PKS5_PKT2_SA_S7_PKT4_S5_PKT5_S4_PT6_21rocsparse_index_base_b
	.p2align	8
	.type	_ZN9rocsparseL22bsrxmvn_general_kernelILj1024ELj32EflifffEEv20rocsparse_direction_NS_24const_host_device_scalarIT1_EET3_PKS5_PKT2_SA_S7_PKT4_S5_PKT5_S4_PT6_21rocsparse_index_base_b,@function
_ZN9rocsparseL22bsrxmvn_general_kernelILj1024ELj32EflifffEEv20rocsparse_direction_NS_24const_host_device_scalarIT1_EET3_PKS5_PKT2_SA_S7_PKT4_S5_PKT5_S4_PT6_21rocsparse_index_base_b: ; @_ZN9rocsparseL22bsrxmvn_general_kernelILj1024ELj32EflifffEEv20rocsparse_direction_NS_24const_host_device_scalarIT1_EET3_PKS5_PKT2_SA_S7_PKT4_S5_PKT5_S4_PT6_21rocsparse_index_base_b
; %bb.0:
	s_load_dwordx2 s[16:17], s[4:5], 0x60
	s_load_dwordx2 s[18:19], s[4:5], 0x8
	;; [unrolled: 1-line block ×3, first 2 shown]
	s_waitcnt lgkmcnt(0)
	s_bitcmp1_b32 s17, 0
	s_cselect_b64 s[2:3], -1, 0
	s_xor_b64 s[0:1], s[2:3], -1
	s_and_b64 vcc, exec, s[2:3]
	s_cbranch_vccnz .LBB14_2
; %bb.1:
	s_load_dword s18, s[18:19], 0x0
.LBB14_2:
	s_andn2_b64 vcc, exec, s[0:1]
	s_cbranch_vccnz .LBB14_4
; %bb.3:
	s_load_dword s20, s[20:21], 0x0
.LBB14_4:
	s_waitcnt lgkmcnt(0)
	v_cmp_neq_f32_e64 s[0:1], s18, 0
	v_cmp_neq_f32_e64 s[2:3], s20, 1.0
	s_or_b64 s[0:1], s[0:1], s[2:3]
	s_andn2_b64 vcc, exec, s[0:1]
	s_cbranch_vccnz .LBB14_26
; %bb.5:
	s_load_dwordx2 s[0:1], s[4:5], 0x18
	s_waitcnt lgkmcnt(0)
	s_cmp_eq_u64 s[0:1], 0
	s_cbranch_scc1 .LBB14_7
; %bb.6:
	s_ashr_i32 s7, s6, 31
	s_lshl_b64 s[2:3], s[6:7], 2
	s_add_u32 s0, s0, s2
	s_addc_u32 s1, s1, s3
	s_load_dword s0, s[0:1], 0x0
	s_waitcnt lgkmcnt(0)
	s_sub_i32 s6, s0, s16
.LBB14_7:
	s_load_dword s17, s[4:5], 0x40
	v_lshrrev_b32_e32 v2, 5, v0
	s_waitcnt lgkmcnt(0)
	v_cmp_gt_i32_e32 vcc, s17, v2
	s_and_saveexec_b64 s[0:1], vcc
	s_cbranch_execz .LBB14_26
; %bb.8:
	s_load_dwordx8 s[8:15], s[4:5], 0x20
	s_ashr_i32 s7, s6, 31
	s_lshl_b64 s[0:1], s[6:7], 3
	s_mul_hi_u32 s19, s17, s17
	s_mul_i32 s21, s17, s17
	s_waitcnt lgkmcnt(0)
	s_add_u32 s2, s8, s0
	s_addc_u32 s3, s9, s1
	s_load_dwordx2 s[34:35], s[2:3], 0x0
	s_load_dwordx2 s[8:9], s[4:5], 0x58
	;; [unrolled: 1-line block ×3, first 2 shown]
	v_and_b32_e32 v0, 31, v0
	v_mov_b32_e32 v3, 0
	s_waitcnt lgkmcnt(0)
	s_sub_u32 s26, s34, s16
	s_subb_u32 s27, s35, 0
	s_add_u32 s2, s2, 8
	s_addc_u32 s3, s3, 0
	s_add_u32 s0, s10, s0
	s_addc_u32 s1, s11, s1
	s_cmp_eq_u64 s[10:11], 0
	s_cselect_b32 s1, s3, s1
	s_cselect_b32 s0, s2, s0
	s_load_dwordx2 s[2:3], s[0:1], 0x0
	s_load_dword s7, s[4:5], 0x0
	s_mul_i32 s4, s26, s19
	s_mul_hi_u32 s5, s26, s21
	s_mov_b64 s[24:25], 0
	s_waitcnt lgkmcnt(0)
	s_sub_u32 s10, s2, s16
	v_pk_mov_b32 v[4:5], s[2:3], s[2:3] op_sel:[0,1]
	s_subb_u32 s11, s3, 0
	s_cmp_lg_u32 s7, 0
	v_cmp_lt_i64_e32 vcc, s[34:35], v[4:5]
	s_cselect_b64 s[28:29], -1, 0
	s_add_i32 s4, s5, s4
	s_mul_i32 s5, s27, s21
	v_cndmask_b32_e64 v4, 0, 1, vcc
	v_cmp_gt_u32_e64 s[0:1], s17, v0
	v_cmp_eq_u32_e64 s[2:3], 31, v0
	v_cmp_eq_f32_e64 s[30:31], s20, 0
	s_mul_i32 s33, s6, s17
	s_add_i32 s40, s4, s5
	s_mul_i32 s41, s26, s21
	v_mul_lo_u32 v12, s17, v2
	s_lshl_b32 s42, s17, 5
	v_mov_b32_e32 v1, v3
	v_mul_lo_u32 v13, s17, v0
	v_cmp_ne_u32_e64 s[4:5], 1, v4
	s_branch .LBB14_10
.LBB14_9:                               ;   in Loop: Header=BB14_10 Depth=1
	s_or_b64 exec, exec, s[6:7]
	v_add_u32_e32 v2, 32, v2
	v_cmp_le_i32_e32 vcc, s17, v2
	s_or_b64 s[24:25], vcc, s[24:25]
	v_add_u32_e32 v12, s42, v12
	s_andn2_b64 exec, exec, s[24:25]
	s_cbranch_execz .LBB14_26
.LBB14_10:                              ; =>This Loop Header: Depth=1
                                        ;     Child Loop BB14_14 Depth 2
                                        ;       Child Loop BB14_17 Depth 3
	s_and_b64 vcc, exec, s[4:5]
	v_mov_b32_e32 v14, 0
	s_cbranch_vccnz .LBB14_21
; %bb.11:                               ;   in Loop: Header=BB14_10 Depth=1
	v_ashrrev_i32_e32 v5, 31, v12
	v_mov_b32_e32 v6, s40
	v_add_co_u32_e32 v4, vcc, s41, v12
	v_addc_co_u32_e32 v5, vcc, v6, v5, vcc
	v_mov_b32_e32 v14, 0
	s_mov_b64 s[6:7], s[26:27]
	s_branch .LBB14_14
.LBB14_12:                              ;   in Loop: Header=BB14_14 Depth=2
	s_or_b64 exec, exec, s[36:37]
.LBB14_13:                              ;   in Loop: Header=BB14_14 Depth=2
	s_or_b64 exec, exec, s[34:35]
	s_add_u32 s6, s6, 1
	v_mov_b32_e32 v6, s19
	v_add_co_u32_e32 v4, vcc, s21, v4
	s_addc_u32 s7, s7, 0
	v_addc_co_u32_e32 v5, vcc, v5, v6, vcc
	v_pk_mov_b32 v[6:7], s[10:11], s[10:11] op_sel:[0,1]
	v_cmp_ge_i64_e32 vcc, s[6:7], v[6:7]
	s_cbranch_vccnz .LBB14_21
.LBB14_14:                              ;   Parent Loop BB14_10 Depth=1
                                        ; =>  This Loop Header: Depth=2
                                        ;       Child Loop BB14_17 Depth 3
	s_and_saveexec_b64 s[34:35], s[0:1]
	s_cbranch_execz .LBB14_13
; %bb.15:                               ;   in Loop: Header=BB14_14 Depth=2
	s_lshl_b64 s[36:37], s[6:7], 2
	s_add_u32 s36, s12, s36
	s_addc_u32 s37, s13, s37
	s_load_dword s36, s[36:37], 0x0
	s_mul_i32 s37, s19, s6
	s_mul_i32 s38, s21, s7
	v_mov_b32_e32 v6, s6
	s_add_i32 s38, s38, s37
	s_waitcnt lgkmcnt(0)
	s_sub_i32 s39, s36, s16
	v_mad_u64_u32 v[6:7], s[36:37], s21, v6, v[2:3]
	v_add_u32_e32 v7, s38, v7
	s_mul_i32 s43, s39, s17
	s_mov_b64 s[36:37], 0
	v_mov_b32_e32 v15, v13
	v_pk_mov_b32 v[8:9], v[0:1], v[0:1] op_sel:[0,1]
	s_branch .LBB14_17
.LBB14_16:                              ;   in Loop: Header=BB14_17 Depth=3
	v_lshlrev_b64 v[10:11], 2, v[10:11]
	v_mov_b32_e32 v16, s15
	v_add_co_u32_e32 v10, vcc, s14, v10
	v_addc_co_u32_e32 v11, vcc, v16, v11, vcc
	global_load_dword v16, v[10:11], off
	v_add_u32_e32 v10, s43, v8
	v_ashrrev_i32_e32 v11, 31, v10
	v_lshlrev_b64 v[10:11], 2, v[10:11]
	v_mov_b32_e32 v17, s23
	v_add_co_u32_e32 v10, vcc, s22, v10
	v_addc_co_u32_e32 v11, vcc, v17, v11, vcc
	global_load_dword v10, v[10:11], off
	v_add_co_u32_e32 v8, vcc, 32, v8
	v_addc_co_u32_e32 v9, vcc, 0, v9, vcc
	v_cmp_le_i32_e32 vcc, s17, v8
	s_or_b64 s[36:37], vcc, s[36:37]
	v_add_u32_e32 v15, s42, v15
	s_waitcnt vmcnt(0)
	v_fmac_f32_e32 v14, v16, v10
	s_andn2_b64 exec, exec, s[36:37]
	s_cbranch_execz .LBB14_12
.LBB14_17:                              ;   Parent Loop BB14_10 Depth=1
                                        ;     Parent Loop BB14_14 Depth=2
                                        ; =>    This Inner Loop Header: Depth=3
	s_and_b64 vcc, exec, s[28:29]
	s_cbranch_vccz .LBB14_19
; %bb.18:                               ;   in Loop: Header=BB14_17 Depth=3
	v_ashrrev_i32_e32 v11, 31, v15
	v_add_co_u32_e32 v10, vcc, v6, v15
	v_addc_co_u32_e32 v11, vcc, v7, v11, vcc
	s_cbranch_execnz .LBB14_16
	s_branch .LBB14_20
.LBB14_19:                              ;   in Loop: Header=BB14_17 Depth=3
                                        ; implicit-def: $vgpr10_vgpr11
.LBB14_20:                              ;   in Loop: Header=BB14_17 Depth=3
	v_add_co_u32_e32 v10, vcc, v4, v8
	v_addc_co_u32_e32 v11, vcc, v5, v9, vcc
	s_branch .LBB14_16
.LBB14_21:                              ;   in Loop: Header=BB14_10 Depth=1
	s_nop 0
	v_mov_b32_dpp v4, v14 row_shr:1 row_mask:0xf bank_mask:0xf
	v_add_f32_e32 v4, v14, v4
	s_nop 1
	v_mov_b32_dpp v5, v4 row_shr:2 row_mask:0xf bank_mask:0xf
	v_add_f32_e32 v4, v4, v5
	s_nop 1
	v_mov_b32_dpp v5, v4 row_shr:4 row_mask:0xf bank_mask:0xe
	v_add_f32_e32 v4, v4, v5
	s_nop 1
	v_mov_b32_dpp v5, v4 row_shr:8 row_mask:0xf bank_mask:0xc
	v_add_f32_e32 v4, v4, v5
	s_nop 1
	v_mov_b32_dpp v5, v4 row_bcast:15 row_mask:0xa bank_mask:0xf
	s_and_saveexec_b64 s[6:7], s[2:3]
	s_cbranch_execz .LBB14_9
; %bb.22:                               ;   in Loop: Header=BB14_10 Depth=1
	v_add_f32_e32 v4, v4, v5
	v_mul_f32_e32 v6, s18, v4
	v_add_u32_e32 v4, s33, v2
	s_and_b64 vcc, exec, s[30:31]
	v_ashrrev_i32_e32 v5, 31, v4
	s_cbranch_vccz .LBB14_24
; %bb.23:                               ;   in Loop: Header=BB14_10 Depth=1
	v_lshlrev_b64 v[8:9], 2, v[4:5]
	v_mov_b32_e32 v7, s9
	v_add_co_u32_e32 v8, vcc, s8, v8
	v_addc_co_u32_e32 v9, vcc, v7, v9, vcc
	global_store_dword v[8:9], v6, off
	s_cbranch_execnz .LBB14_9
	s_branch .LBB14_25
.LBB14_24:                              ;   in Loop: Header=BB14_10 Depth=1
.LBB14_25:                              ;   in Loop: Header=BB14_10 Depth=1
	v_lshlrev_b64 v[4:5], 2, v[4:5]
	v_mov_b32_e32 v7, s9
	v_add_co_u32_e32 v4, vcc, s8, v4
	v_addc_co_u32_e32 v5, vcc, v7, v5, vcc
	global_load_dword v7, v[4:5], off
	s_waitcnt vmcnt(0)
	v_fmac_f32_e32 v6, s20, v7
	global_store_dword v[4:5], v6, off
	s_branch .LBB14_9
.LBB14_26:
	s_endpgm
	.section	.rodata,"a",@progbits
	.p2align	6, 0x0
	.amdhsa_kernel _ZN9rocsparseL22bsrxmvn_general_kernelILj1024ELj32EflifffEEv20rocsparse_direction_NS_24const_host_device_scalarIT1_EET3_PKS5_PKT2_SA_S7_PKT4_S5_PKT5_S4_PT6_21rocsparse_index_base_b
		.amdhsa_group_segment_fixed_size 0
		.amdhsa_private_segment_fixed_size 0
		.amdhsa_kernarg_size 104
		.amdhsa_user_sgpr_count 6
		.amdhsa_user_sgpr_private_segment_buffer 1
		.amdhsa_user_sgpr_dispatch_ptr 0
		.amdhsa_user_sgpr_queue_ptr 0
		.amdhsa_user_sgpr_kernarg_segment_ptr 1
		.amdhsa_user_sgpr_dispatch_id 0
		.amdhsa_user_sgpr_flat_scratch_init 0
		.amdhsa_user_sgpr_kernarg_preload_length 0
		.amdhsa_user_sgpr_kernarg_preload_offset 0
		.amdhsa_user_sgpr_private_segment_size 0
		.amdhsa_uses_dynamic_stack 0
		.amdhsa_system_sgpr_private_segment_wavefront_offset 0
		.amdhsa_system_sgpr_workgroup_id_x 1
		.amdhsa_system_sgpr_workgroup_id_y 0
		.amdhsa_system_sgpr_workgroup_id_z 0
		.amdhsa_system_sgpr_workgroup_info 0
		.amdhsa_system_vgpr_workitem_id 0
		.amdhsa_next_free_vgpr 18
		.amdhsa_next_free_sgpr 44
		.amdhsa_accum_offset 20
		.amdhsa_reserve_vcc 1
		.amdhsa_reserve_flat_scratch 0
		.amdhsa_float_round_mode_32 0
		.amdhsa_float_round_mode_16_64 0
		.amdhsa_float_denorm_mode_32 3
		.amdhsa_float_denorm_mode_16_64 3
		.amdhsa_dx10_clamp 1
		.amdhsa_ieee_mode 1
		.amdhsa_fp16_overflow 0
		.amdhsa_tg_split 0
		.amdhsa_exception_fp_ieee_invalid_op 0
		.amdhsa_exception_fp_denorm_src 0
		.amdhsa_exception_fp_ieee_div_zero 0
		.amdhsa_exception_fp_ieee_overflow 0
		.amdhsa_exception_fp_ieee_underflow 0
		.amdhsa_exception_fp_ieee_inexact 0
		.amdhsa_exception_int_div_zero 0
	.end_amdhsa_kernel
	.section	.text._ZN9rocsparseL22bsrxmvn_general_kernelILj1024ELj32EflifffEEv20rocsparse_direction_NS_24const_host_device_scalarIT1_EET3_PKS5_PKT2_SA_S7_PKT4_S5_PKT5_S4_PT6_21rocsparse_index_base_b,"axG",@progbits,_ZN9rocsparseL22bsrxmvn_general_kernelILj1024ELj32EflifffEEv20rocsparse_direction_NS_24const_host_device_scalarIT1_EET3_PKS5_PKT2_SA_S7_PKT4_S5_PKT5_S4_PT6_21rocsparse_index_base_b,comdat
.Lfunc_end14:
	.size	_ZN9rocsparseL22bsrxmvn_general_kernelILj1024ELj32EflifffEEv20rocsparse_direction_NS_24const_host_device_scalarIT1_EET3_PKS5_PKT2_SA_S7_PKT4_S5_PKT5_S4_PT6_21rocsparse_index_base_b, .Lfunc_end14-_ZN9rocsparseL22bsrxmvn_general_kernelILj1024ELj32EflifffEEv20rocsparse_direction_NS_24const_host_device_scalarIT1_EET3_PKS5_PKT2_SA_S7_PKT4_S5_PKT5_S4_PT6_21rocsparse_index_base_b
                                        ; -- End function
	.section	.AMDGPU.csdata,"",@progbits
; Kernel info:
; codeLenInByte = 976
; NumSgprs: 48
; NumVgprs: 18
; NumAgprs: 0
; TotalNumVgprs: 18
; ScratchSize: 0
; MemoryBound: 0
; FloatMode: 240
; IeeeMode: 1
; LDSByteSize: 0 bytes/workgroup (compile time only)
; SGPRBlocks: 5
; VGPRBlocks: 2
; NumSGPRsForWavesPerEU: 48
; NumVGPRsForWavesPerEU: 18
; AccumOffset: 20
; Occupancy: 8
; WaveLimiterHint : 1
; COMPUTE_PGM_RSRC2:SCRATCH_EN: 0
; COMPUTE_PGM_RSRC2:USER_SGPR: 6
; COMPUTE_PGM_RSRC2:TRAP_HANDLER: 0
; COMPUTE_PGM_RSRC2:TGID_X_EN: 1
; COMPUTE_PGM_RSRC2:TGID_Y_EN: 0
; COMPUTE_PGM_RSRC2:TGID_Z_EN: 0
; COMPUTE_PGM_RSRC2:TIDIG_COMP_CNT: 0
; COMPUTE_PGM_RSRC3_GFX90A:ACCUM_OFFSET: 4
; COMPUTE_PGM_RSRC3_GFX90A:TG_SPLIT: 0
	.section	.text._ZN9rocsparseL22bsrxmvn_general_kernelILj64ELj8EdlidddEEv20rocsparse_direction_NS_24const_host_device_scalarIT1_EET3_PKS5_PKT2_SA_S7_PKT4_S5_PKT5_S4_PT6_21rocsparse_index_base_b,"axG",@progbits,_ZN9rocsparseL22bsrxmvn_general_kernelILj64ELj8EdlidddEEv20rocsparse_direction_NS_24const_host_device_scalarIT1_EET3_PKS5_PKT2_SA_S7_PKT4_S5_PKT5_S4_PT6_21rocsparse_index_base_b,comdat
	.globl	_ZN9rocsparseL22bsrxmvn_general_kernelILj64ELj8EdlidddEEv20rocsparse_direction_NS_24const_host_device_scalarIT1_EET3_PKS5_PKT2_SA_S7_PKT4_S5_PKT5_S4_PT6_21rocsparse_index_base_b ; -- Begin function _ZN9rocsparseL22bsrxmvn_general_kernelILj64ELj8EdlidddEEv20rocsparse_direction_NS_24const_host_device_scalarIT1_EET3_PKS5_PKT2_SA_S7_PKT4_S5_PKT5_S4_PT6_21rocsparse_index_base_b
	.p2align	8
	.type	_ZN9rocsparseL22bsrxmvn_general_kernelILj64ELj8EdlidddEEv20rocsparse_direction_NS_24const_host_device_scalarIT1_EET3_PKS5_PKT2_SA_S7_PKT4_S5_PKT5_S4_PT6_21rocsparse_index_base_b,@function
_ZN9rocsparseL22bsrxmvn_general_kernelILj64ELj8EdlidddEEv20rocsparse_direction_NS_24const_host_device_scalarIT1_EET3_PKS5_PKT2_SA_S7_PKT4_S5_PKT5_S4_PT6_21rocsparse_index_base_b: ; @_ZN9rocsparseL22bsrxmvn_general_kernelILj64ELj8EdlidddEEv20rocsparse_direction_NS_24const_host_device_scalarIT1_EET3_PKS5_PKT2_SA_S7_PKT4_S5_PKT5_S4_PT6_21rocsparse_index_base_b
; %bb.0:
	s_load_dwordx2 s[16:17], s[4:5], 0x60
	s_load_dwordx2 s[8:9], s[4:5], 0x8
	;; [unrolled: 1-line block ×3, first 2 shown]
	s_waitcnt lgkmcnt(0)
	s_bitcmp1_b32 s17, 0
	s_cselect_b64 s[10:11], -1, 0
	s_xor_b64 s[2:3], s[10:11], -1
	s_and_b64 vcc, exec, s[10:11]
	v_pk_mov_b32 v[2:3], s[8:9], s[8:9] op_sel:[0,1]
	s_cbranch_vccnz .LBB15_2
; %bb.1:
	v_pk_mov_b32 v[2:3], s[8:9], s[8:9] op_sel:[0,1]
	flat_load_dwordx2 v[2:3], v[2:3]
.LBB15_2:
	s_andn2_b64 vcc, exec, s[2:3]
	v_pk_mov_b32 v[4:5], s[0:1], s[0:1] op_sel:[0,1]
	s_cbranch_vccnz .LBB15_4
; %bb.3:
	v_pk_mov_b32 v[4:5], s[0:1], s[0:1] op_sel:[0,1]
	flat_load_dwordx2 v[4:5], v[4:5]
.LBB15_4:
	s_waitcnt vmcnt(0) lgkmcnt(0)
	v_cmp_neq_f64_e32 vcc, 0, v[2:3]
	v_cmp_neq_f64_e64 s[0:1], 1.0, v[4:5]
	s_or_b64 s[0:1], vcc, s[0:1]
	s_and_saveexec_b64 s[2:3], s[0:1]
	s_cbranch_execz .LBB15_26
; %bb.5:
	s_load_dwordx2 s[0:1], s[4:5], 0x18
	s_waitcnt lgkmcnt(0)
	s_cmp_eq_u64 s[0:1], 0
	s_cbranch_scc1 .LBB15_7
; %bb.6:
	s_ashr_i32 s7, s6, 31
	s_lshl_b64 s[2:3], s[6:7], 2
	s_add_u32 s0, s0, s2
	s_addc_u32 s1, s1, s3
	s_load_dword s0, s[0:1], 0x0
	s_waitcnt lgkmcnt(0)
	s_sub_i32 s6, s0, s16
.LBB15_7:
	s_load_dword s17, s[4:5], 0x40
	v_lshrrev_b32_e32 v6, 3, v0
	s_waitcnt lgkmcnt(0)
	v_cmp_gt_i32_e32 vcc, s17, v6
	s_and_b64 exec, exec, vcc
	s_cbranch_execz .LBB15_26
; %bb.8:
	s_load_dwordx8 s[8:15], s[4:5], 0x20
	s_ashr_i32 s7, s6, 31
	s_lshl_b64 s[0:1], s[6:7], 3
	s_mul_hi_u32 s33, s17, s17
	s_mul_i32 s36, s17, s17
	s_waitcnt lgkmcnt(0)
	s_add_u32 s2, s8, s0
	s_addc_u32 s3, s9, s1
	s_load_dwordx2 s[26:27], s[2:3], 0x0
	s_load_dwordx2 s[8:9], s[4:5], 0x58
	;; [unrolled: 1-line block ×3, first 2 shown]
	s_mul_i32 s37, s6, s17
	v_and_b32_e32 v0, 7, v0
	s_waitcnt lgkmcnt(0)
	s_sub_u32 s22, s26, s16
	s_subb_u32 s23, s27, 0
	s_add_u32 s2, s2, 8
	s_addc_u32 s3, s3, 0
	s_add_u32 s0, s10, s0
	s_addc_u32 s1, s11, s1
	s_cmp_eq_u64 s[10:11], 0
	s_cselect_b32 s1, s3, s1
	s_cselect_b32 s0, s2, s0
	s_load_dwordx2 s[2:3], s[0:1], 0x0
	s_load_dword s7, s[4:5], 0x0
	s_mul_i32 s6, s22, s33
	s_mov_b64 s[20:21], 0
	v_cmp_gt_u32_e64 s[0:1], s17, v0
	s_waitcnt lgkmcnt(0)
	s_sub_u32 s10, s2, s16
	v_pk_mov_b32 v[8:9], s[2:3], s[2:3] op_sel:[0,1]
	s_subb_u32 s11, s3, 0
	s_cmp_lg_u32 s7, 0
	s_mul_hi_u32 s7, s22, s36
	v_cmp_lt_i64_e32 vcc, s[26:27], v[8:9]
	s_cselect_b64 s[24:25], -1, 0
	s_add_i32 s6, s7, s6
	s_mul_i32 s7, s23, s36
	v_cndmask_b32_e64 v7, 0, 1, vcc
	v_cmp_eq_u32_e64 s[2:3], 7, v0
	v_cmp_eq_f64_e64 s[4:5], 0, v[4:5]
	s_add_i32 s38, s6, s7
	s_mul_i32 s39, s22, s36
	v_mul_lo_u32 v18, s17, v6
	s_lshl_b32 s40, s17, 3
	v_mov_b32_e32 v1, 0
	v_mul_lo_u32 v19, s17, v0
	v_cmp_ne_u32_e64 s[6:7], 1, v7
	s_branch .LBB15_10
.LBB15_9:                               ;   in Loop: Header=BB15_10 Depth=1
	s_or_b64 exec, exec, s[26:27]
	v_add_u32_e32 v6, 8, v6
	v_cmp_le_i32_e32 vcc, s17, v6
	s_or_b64 s[20:21], vcc, s[20:21]
	v_add_u32_e32 v18, s40, v18
	s_andn2_b64 exec, exec, s[20:21]
	s_cbranch_execz .LBB15_26
.LBB15_10:                              ; =>This Loop Header: Depth=1
                                        ;     Child Loop BB15_14 Depth 2
                                        ;       Child Loop BB15_17 Depth 3
	s_and_b64 vcc, exec, s[6:7]
	v_pk_mov_b32 v[8:9], 0, 0
	s_cbranch_vccnz .LBB15_21
; %bb.11:                               ;   in Loop: Header=BB15_10 Depth=1
	v_ashrrev_i32_e32 v7, 31, v18
	v_mov_b32_e32 v8, s38
	v_add_co_u32_e32 v10, vcc, s39, v18
	v_addc_co_u32_e32 v11, vcc, v8, v7, vcc
	v_ashrrev_i32_e32 v7, 31, v6
	v_pk_mov_b32 v[8:9], 0, 0
	s_mov_b64 s[26:27], s[22:23]
	s_branch .LBB15_14
.LBB15_12:                              ;   in Loop: Header=BB15_14 Depth=2
	s_or_b64 exec, exec, s[30:31]
.LBB15_13:                              ;   in Loop: Header=BB15_14 Depth=2
	s_or_b64 exec, exec, s[28:29]
	s_add_u32 s26, s26, 1
	v_mov_b32_e32 v12, s33
	v_add_co_u32_e32 v10, vcc, s36, v10
	s_addc_u32 s27, s27, 0
	v_addc_co_u32_e32 v11, vcc, v11, v12, vcc
	v_pk_mov_b32 v[12:13], s[10:11], s[10:11] op_sel:[0,1]
	v_cmp_ge_i64_e32 vcc, s[26:27], v[12:13]
	s_cbranch_vccnz .LBB15_21
.LBB15_14:                              ;   Parent Loop BB15_10 Depth=1
                                        ; =>  This Loop Header: Depth=2
                                        ;       Child Loop BB15_17 Depth 3
	s_and_saveexec_b64 s[28:29], s[0:1]
	s_cbranch_execz .LBB15_13
; %bb.15:                               ;   in Loop: Header=BB15_14 Depth=2
	s_lshl_b64 s[30:31], s[26:27], 2
	s_add_u32 s30, s12, s30
	s_addc_u32 s31, s13, s31
	s_load_dword s30, s[30:31], 0x0
	s_mul_i32 s31, s33, s26
	s_mul_i32 s34, s36, s27
	v_mov_b32_e32 v12, s26
	s_add_i32 s34, s34, s31
	s_waitcnt lgkmcnt(0)
	s_sub_i32 s35, s30, s16
	v_mad_u64_u32 v[12:13], s[30:31], s36, v12, v[6:7]
	v_add_u32_e32 v13, s34, v13
	s_mul_i32 s41, s35, s17
	s_mov_b64 s[30:31], 0
	v_mov_b32_e32 v20, v19
	v_pk_mov_b32 v[14:15], v[0:1], v[0:1] op_sel:[0,1]
	s_branch .LBB15_17
.LBB15_16:                              ;   in Loop: Header=BB15_17 Depth=3
	v_lshlrev_b64 v[16:17], 3, v[16:17]
	v_add_u32_e32 v22, s41, v14
	v_mov_b32_e32 v21, s15
	v_add_co_u32_e32 v16, vcc, s14, v16
	v_ashrrev_i32_e32 v23, 31, v22
	v_addc_co_u32_e32 v17, vcc, v21, v17, vcc
	v_lshlrev_b64 v[22:23], 3, v[22:23]
	v_mov_b32_e32 v21, s19
	v_add_co_u32_e32 v22, vcc, s18, v22
	v_addc_co_u32_e32 v23, vcc, v21, v23, vcc
	global_load_dwordx2 v[16:17], v[16:17], off
	v_add_co_u32_e32 v14, vcc, 8, v14
	global_load_dwordx2 v[22:23], v[22:23], off
	v_addc_co_u32_e32 v15, vcc, 0, v15, vcc
	v_cmp_le_i32_e32 vcc, s17, v14
	s_or_b64 s[30:31], vcc, s[30:31]
	v_add_u32_e32 v20, s40, v20
	s_waitcnt vmcnt(0)
	v_fmac_f64_e32 v[8:9], v[16:17], v[22:23]
	s_andn2_b64 exec, exec, s[30:31]
	s_cbranch_execz .LBB15_12
.LBB15_17:                              ;   Parent Loop BB15_10 Depth=1
                                        ;     Parent Loop BB15_14 Depth=2
                                        ; =>    This Inner Loop Header: Depth=3
	s_and_b64 vcc, exec, s[24:25]
	s_cbranch_vccz .LBB15_19
; %bb.18:                               ;   in Loop: Header=BB15_17 Depth=3
	v_ashrrev_i32_e32 v17, 31, v20
	v_add_co_u32_e32 v16, vcc, v12, v20
	v_addc_co_u32_e32 v17, vcc, v13, v17, vcc
	s_cbranch_execnz .LBB15_16
	s_branch .LBB15_20
.LBB15_19:                              ;   in Loop: Header=BB15_17 Depth=3
                                        ; implicit-def: $vgpr16_vgpr17
.LBB15_20:                              ;   in Loop: Header=BB15_17 Depth=3
	v_add_co_u32_e32 v16, vcc, v10, v14
	v_addc_co_u32_e32 v17, vcc, v11, v15, vcc
	s_branch .LBB15_16
.LBB15_21:                              ;   in Loop: Header=BB15_10 Depth=1
	s_nop 0
	v_mov_b32_dpp v10, v8 row_shr:1 row_mask:0xf bank_mask:0xf
	v_mov_b32_dpp v11, v9 row_shr:1 row_mask:0xf bank_mask:0xf
	v_add_f64 v[8:9], v[8:9], v[10:11]
	s_nop 1
	v_mov_b32_dpp v10, v8 row_shr:2 row_mask:0xf bank_mask:0xf
	v_mov_b32_dpp v11, v9 row_shr:2 row_mask:0xf bank_mask:0xf
	v_add_f64 v[8:9], v[8:9], v[10:11]
	s_nop 1
	v_mov_b32_dpp v10, v8 row_shr:4 row_mask:0xf bank_mask:0xe
	v_mov_b32_dpp v11, v9 row_shr:4 row_mask:0xf bank_mask:0xe
	s_and_saveexec_b64 s[26:27], s[2:3]
	s_cbranch_execz .LBB15_9
; %bb.22:                               ;   in Loop: Header=BB15_10 Depth=1
	v_add_f64 v[8:9], v[8:9], v[10:11]
	v_add_u32_e32 v10, s37, v6
	v_mul_f64 v[8:9], v[2:3], v[8:9]
	v_ashrrev_i32_e32 v11, 31, v10
	s_and_saveexec_b64 s[28:29], s[4:5]
	s_xor_b64 s[28:29], exec, s[28:29]
	s_cbranch_execz .LBB15_24
; %bb.23:                               ;   in Loop: Header=BB15_10 Depth=1
	v_lshlrev_b64 v[10:11], 3, v[10:11]
	v_mov_b32_e32 v7, s9
	v_add_co_u32_e32 v10, vcc, s8, v10
	v_addc_co_u32_e32 v11, vcc, v7, v11, vcc
	global_store_dwordx2 v[10:11], v[8:9], off
                                        ; implicit-def: $vgpr10
                                        ; implicit-def: $vgpr8_vgpr9
.LBB15_24:                              ;   in Loop: Header=BB15_10 Depth=1
	s_andn2_saveexec_b64 s[28:29], s[28:29]
	s_cbranch_execz .LBB15_9
; %bb.25:                               ;   in Loop: Header=BB15_10 Depth=1
	v_lshlrev_b64 v[10:11], 3, v[10:11]
	v_mov_b32_e32 v7, s9
	v_add_co_u32_e32 v10, vcc, s8, v10
	v_addc_co_u32_e32 v11, vcc, v7, v11, vcc
	global_load_dwordx2 v[12:13], v[10:11], off
	s_waitcnt vmcnt(0)
	v_fmac_f64_e32 v[8:9], v[4:5], v[12:13]
	global_store_dwordx2 v[10:11], v[8:9], off
	s_branch .LBB15_9
.LBB15_26:
	s_endpgm
	.section	.rodata,"a",@progbits
	.p2align	6, 0x0
	.amdhsa_kernel _ZN9rocsparseL22bsrxmvn_general_kernelILj64ELj8EdlidddEEv20rocsparse_direction_NS_24const_host_device_scalarIT1_EET3_PKS5_PKT2_SA_S7_PKT4_S5_PKT5_S4_PT6_21rocsparse_index_base_b
		.amdhsa_group_segment_fixed_size 0
		.amdhsa_private_segment_fixed_size 0
		.amdhsa_kernarg_size 104
		.amdhsa_user_sgpr_count 6
		.amdhsa_user_sgpr_private_segment_buffer 1
		.amdhsa_user_sgpr_dispatch_ptr 0
		.amdhsa_user_sgpr_queue_ptr 0
		.amdhsa_user_sgpr_kernarg_segment_ptr 1
		.amdhsa_user_sgpr_dispatch_id 0
		.amdhsa_user_sgpr_flat_scratch_init 0
		.amdhsa_user_sgpr_kernarg_preload_length 0
		.amdhsa_user_sgpr_kernarg_preload_offset 0
		.amdhsa_user_sgpr_private_segment_size 0
		.amdhsa_uses_dynamic_stack 0
		.amdhsa_system_sgpr_private_segment_wavefront_offset 0
		.amdhsa_system_sgpr_workgroup_id_x 1
		.amdhsa_system_sgpr_workgroup_id_y 0
		.amdhsa_system_sgpr_workgroup_id_z 0
		.amdhsa_system_sgpr_workgroup_info 0
		.amdhsa_system_vgpr_workitem_id 0
		.amdhsa_next_free_vgpr 24
		.amdhsa_next_free_sgpr 42
		.amdhsa_accum_offset 24
		.amdhsa_reserve_vcc 1
		.amdhsa_reserve_flat_scratch 0
		.amdhsa_float_round_mode_32 0
		.amdhsa_float_round_mode_16_64 0
		.amdhsa_float_denorm_mode_32 3
		.amdhsa_float_denorm_mode_16_64 3
		.amdhsa_dx10_clamp 1
		.amdhsa_ieee_mode 1
		.amdhsa_fp16_overflow 0
		.amdhsa_tg_split 0
		.amdhsa_exception_fp_ieee_invalid_op 0
		.amdhsa_exception_fp_denorm_src 0
		.amdhsa_exception_fp_ieee_div_zero 0
		.amdhsa_exception_fp_ieee_overflow 0
		.amdhsa_exception_fp_ieee_underflow 0
		.amdhsa_exception_fp_ieee_inexact 0
		.amdhsa_exception_int_div_zero 0
	.end_amdhsa_kernel
	.section	.text._ZN9rocsparseL22bsrxmvn_general_kernelILj64ELj8EdlidddEEv20rocsparse_direction_NS_24const_host_device_scalarIT1_EET3_PKS5_PKT2_SA_S7_PKT4_S5_PKT5_S4_PT6_21rocsparse_index_base_b,"axG",@progbits,_ZN9rocsparseL22bsrxmvn_general_kernelILj64ELj8EdlidddEEv20rocsparse_direction_NS_24const_host_device_scalarIT1_EET3_PKS5_PKT2_SA_S7_PKT4_S5_PKT5_S4_PT6_21rocsparse_index_base_b,comdat
.Lfunc_end15:
	.size	_ZN9rocsparseL22bsrxmvn_general_kernelILj64ELj8EdlidddEEv20rocsparse_direction_NS_24const_host_device_scalarIT1_EET3_PKS5_PKT2_SA_S7_PKT4_S5_PKT5_S4_PT6_21rocsparse_index_base_b, .Lfunc_end15-_ZN9rocsparseL22bsrxmvn_general_kernelILj64ELj8EdlidddEEv20rocsparse_direction_NS_24const_host_device_scalarIT1_EET3_PKS5_PKT2_SA_S7_PKT4_S5_PKT5_S4_PT6_21rocsparse_index_base_b
                                        ; -- End function
	.section	.AMDGPU.csdata,"",@progbits
; Kernel info:
; codeLenInByte = 1024
; NumSgprs: 46
; NumVgprs: 24
; NumAgprs: 0
; TotalNumVgprs: 24
; ScratchSize: 0
; MemoryBound: 0
; FloatMode: 240
; IeeeMode: 1
; LDSByteSize: 0 bytes/workgroup (compile time only)
; SGPRBlocks: 5
; VGPRBlocks: 2
; NumSGPRsForWavesPerEU: 46
; NumVGPRsForWavesPerEU: 24
; AccumOffset: 24
; Occupancy: 8
; WaveLimiterHint : 1
; COMPUTE_PGM_RSRC2:SCRATCH_EN: 0
; COMPUTE_PGM_RSRC2:USER_SGPR: 6
; COMPUTE_PGM_RSRC2:TRAP_HANDLER: 0
; COMPUTE_PGM_RSRC2:TGID_X_EN: 1
; COMPUTE_PGM_RSRC2:TGID_Y_EN: 0
; COMPUTE_PGM_RSRC2:TGID_Z_EN: 0
; COMPUTE_PGM_RSRC2:TIDIG_COMP_CNT: 0
; COMPUTE_PGM_RSRC3_GFX90A:ACCUM_OFFSET: 5
; COMPUTE_PGM_RSRC3_GFX90A:TG_SPLIT: 0
	.section	.text._ZN9rocsparseL22bsrxmvn_general_kernelILj256ELj16EdlidddEEv20rocsparse_direction_NS_24const_host_device_scalarIT1_EET3_PKS5_PKT2_SA_S7_PKT4_S5_PKT5_S4_PT6_21rocsparse_index_base_b,"axG",@progbits,_ZN9rocsparseL22bsrxmvn_general_kernelILj256ELj16EdlidddEEv20rocsparse_direction_NS_24const_host_device_scalarIT1_EET3_PKS5_PKT2_SA_S7_PKT4_S5_PKT5_S4_PT6_21rocsparse_index_base_b,comdat
	.globl	_ZN9rocsparseL22bsrxmvn_general_kernelILj256ELj16EdlidddEEv20rocsparse_direction_NS_24const_host_device_scalarIT1_EET3_PKS5_PKT2_SA_S7_PKT4_S5_PKT5_S4_PT6_21rocsparse_index_base_b ; -- Begin function _ZN9rocsparseL22bsrxmvn_general_kernelILj256ELj16EdlidddEEv20rocsparse_direction_NS_24const_host_device_scalarIT1_EET3_PKS5_PKT2_SA_S7_PKT4_S5_PKT5_S4_PT6_21rocsparse_index_base_b
	.p2align	8
	.type	_ZN9rocsparseL22bsrxmvn_general_kernelILj256ELj16EdlidddEEv20rocsparse_direction_NS_24const_host_device_scalarIT1_EET3_PKS5_PKT2_SA_S7_PKT4_S5_PKT5_S4_PT6_21rocsparse_index_base_b,@function
_ZN9rocsparseL22bsrxmvn_general_kernelILj256ELj16EdlidddEEv20rocsparse_direction_NS_24const_host_device_scalarIT1_EET3_PKS5_PKT2_SA_S7_PKT4_S5_PKT5_S4_PT6_21rocsparse_index_base_b: ; @_ZN9rocsparseL22bsrxmvn_general_kernelILj256ELj16EdlidddEEv20rocsparse_direction_NS_24const_host_device_scalarIT1_EET3_PKS5_PKT2_SA_S7_PKT4_S5_PKT5_S4_PT6_21rocsparse_index_base_b
; %bb.0:
	s_load_dwordx2 s[16:17], s[4:5], 0x60
	s_load_dwordx2 s[8:9], s[4:5], 0x8
	;; [unrolled: 1-line block ×3, first 2 shown]
	s_waitcnt lgkmcnt(0)
	s_bitcmp1_b32 s17, 0
	s_cselect_b64 s[10:11], -1, 0
	s_xor_b64 s[2:3], s[10:11], -1
	s_and_b64 vcc, exec, s[10:11]
	v_pk_mov_b32 v[2:3], s[8:9], s[8:9] op_sel:[0,1]
	s_cbranch_vccnz .LBB16_2
; %bb.1:
	v_pk_mov_b32 v[2:3], s[8:9], s[8:9] op_sel:[0,1]
	flat_load_dwordx2 v[2:3], v[2:3]
.LBB16_2:
	s_andn2_b64 vcc, exec, s[2:3]
	v_pk_mov_b32 v[4:5], s[0:1], s[0:1] op_sel:[0,1]
	s_cbranch_vccnz .LBB16_4
; %bb.3:
	v_pk_mov_b32 v[4:5], s[0:1], s[0:1] op_sel:[0,1]
	flat_load_dwordx2 v[4:5], v[4:5]
.LBB16_4:
	s_waitcnt vmcnt(0) lgkmcnt(0)
	v_cmp_neq_f64_e32 vcc, 0, v[2:3]
	v_cmp_neq_f64_e64 s[0:1], 1.0, v[4:5]
	s_or_b64 s[0:1], vcc, s[0:1]
	s_and_saveexec_b64 s[2:3], s[0:1]
	s_cbranch_execz .LBB16_26
; %bb.5:
	s_load_dwordx2 s[0:1], s[4:5], 0x18
	s_waitcnt lgkmcnt(0)
	s_cmp_eq_u64 s[0:1], 0
	s_cbranch_scc1 .LBB16_7
; %bb.6:
	s_ashr_i32 s7, s6, 31
	s_lshl_b64 s[2:3], s[6:7], 2
	s_add_u32 s0, s0, s2
	s_addc_u32 s1, s1, s3
	s_load_dword s0, s[0:1], 0x0
	s_waitcnt lgkmcnt(0)
	s_sub_i32 s6, s0, s16
.LBB16_7:
	s_load_dword s17, s[4:5], 0x40
	v_lshrrev_b32_e32 v6, 4, v0
	s_waitcnt lgkmcnt(0)
	v_cmp_gt_i32_e32 vcc, s17, v6
	s_and_b64 exec, exec, vcc
	s_cbranch_execz .LBB16_26
; %bb.8:
	s_load_dwordx8 s[8:15], s[4:5], 0x20
	s_ashr_i32 s7, s6, 31
	s_lshl_b64 s[0:1], s[6:7], 3
	s_mul_hi_u32 s33, s17, s17
	s_mul_i32 s36, s17, s17
	s_waitcnt lgkmcnt(0)
	s_add_u32 s2, s8, s0
	s_addc_u32 s3, s9, s1
	s_load_dwordx2 s[26:27], s[2:3], 0x0
	s_load_dwordx2 s[8:9], s[4:5], 0x58
	;; [unrolled: 1-line block ×3, first 2 shown]
	s_mul_i32 s37, s6, s17
	v_and_b32_e32 v0, 15, v0
	s_waitcnt lgkmcnt(0)
	s_sub_u32 s22, s26, s16
	s_subb_u32 s23, s27, 0
	s_add_u32 s2, s2, 8
	s_addc_u32 s3, s3, 0
	s_add_u32 s0, s10, s0
	s_addc_u32 s1, s11, s1
	s_cmp_eq_u64 s[10:11], 0
	s_cselect_b32 s1, s3, s1
	s_cselect_b32 s0, s2, s0
	s_load_dwordx2 s[2:3], s[0:1], 0x0
	s_load_dword s7, s[4:5], 0x0
	s_mul_i32 s6, s22, s33
	s_mov_b64 s[20:21], 0
	v_cmp_gt_u32_e64 s[0:1], s17, v0
	s_waitcnt lgkmcnt(0)
	s_sub_u32 s10, s2, s16
	v_pk_mov_b32 v[8:9], s[2:3], s[2:3] op_sel:[0,1]
	s_subb_u32 s11, s3, 0
	s_cmp_lg_u32 s7, 0
	s_mul_hi_u32 s7, s22, s36
	v_cmp_lt_i64_e32 vcc, s[26:27], v[8:9]
	s_cselect_b64 s[24:25], -1, 0
	s_add_i32 s6, s7, s6
	s_mul_i32 s7, s23, s36
	v_cndmask_b32_e64 v7, 0, 1, vcc
	v_cmp_eq_u32_e64 s[2:3], 15, v0
	v_cmp_eq_f64_e64 s[4:5], 0, v[4:5]
	s_add_i32 s38, s6, s7
	s_mul_i32 s39, s22, s36
	v_mul_lo_u32 v18, s17, v6
	s_lshl_b32 s40, s17, 4
	v_mov_b32_e32 v1, 0
	v_mul_lo_u32 v19, s17, v0
	v_cmp_ne_u32_e64 s[6:7], 1, v7
	s_branch .LBB16_10
.LBB16_9:                               ;   in Loop: Header=BB16_10 Depth=1
	s_or_b64 exec, exec, s[26:27]
	v_add_u32_e32 v6, 16, v6
	v_cmp_le_i32_e32 vcc, s17, v6
	s_or_b64 s[20:21], vcc, s[20:21]
	v_add_u32_e32 v18, s40, v18
	s_andn2_b64 exec, exec, s[20:21]
	s_cbranch_execz .LBB16_26
.LBB16_10:                              ; =>This Loop Header: Depth=1
                                        ;     Child Loop BB16_14 Depth 2
                                        ;       Child Loop BB16_17 Depth 3
	s_and_b64 vcc, exec, s[6:7]
	v_pk_mov_b32 v[8:9], 0, 0
	s_cbranch_vccnz .LBB16_21
; %bb.11:                               ;   in Loop: Header=BB16_10 Depth=1
	v_ashrrev_i32_e32 v7, 31, v18
	v_mov_b32_e32 v8, s38
	v_add_co_u32_e32 v10, vcc, s39, v18
	v_addc_co_u32_e32 v11, vcc, v8, v7, vcc
	v_ashrrev_i32_e32 v7, 31, v6
	v_pk_mov_b32 v[8:9], 0, 0
	s_mov_b64 s[26:27], s[22:23]
	s_branch .LBB16_14
.LBB16_12:                              ;   in Loop: Header=BB16_14 Depth=2
	s_or_b64 exec, exec, s[30:31]
.LBB16_13:                              ;   in Loop: Header=BB16_14 Depth=2
	s_or_b64 exec, exec, s[28:29]
	s_add_u32 s26, s26, 1
	v_mov_b32_e32 v12, s33
	v_add_co_u32_e32 v10, vcc, s36, v10
	s_addc_u32 s27, s27, 0
	v_addc_co_u32_e32 v11, vcc, v11, v12, vcc
	v_pk_mov_b32 v[12:13], s[10:11], s[10:11] op_sel:[0,1]
	v_cmp_ge_i64_e32 vcc, s[26:27], v[12:13]
	s_cbranch_vccnz .LBB16_21
.LBB16_14:                              ;   Parent Loop BB16_10 Depth=1
                                        ; =>  This Loop Header: Depth=2
                                        ;       Child Loop BB16_17 Depth 3
	s_and_saveexec_b64 s[28:29], s[0:1]
	s_cbranch_execz .LBB16_13
; %bb.15:                               ;   in Loop: Header=BB16_14 Depth=2
	s_lshl_b64 s[30:31], s[26:27], 2
	s_add_u32 s30, s12, s30
	s_addc_u32 s31, s13, s31
	s_load_dword s30, s[30:31], 0x0
	s_mul_i32 s31, s33, s26
	s_mul_i32 s34, s36, s27
	v_mov_b32_e32 v12, s26
	s_add_i32 s34, s34, s31
	s_waitcnt lgkmcnt(0)
	s_sub_i32 s35, s30, s16
	v_mad_u64_u32 v[12:13], s[30:31], s36, v12, v[6:7]
	v_add_u32_e32 v13, s34, v13
	s_mul_i32 s41, s35, s17
	s_mov_b64 s[30:31], 0
	v_mov_b32_e32 v20, v19
	v_pk_mov_b32 v[14:15], v[0:1], v[0:1] op_sel:[0,1]
	s_branch .LBB16_17
.LBB16_16:                              ;   in Loop: Header=BB16_17 Depth=3
	v_lshlrev_b64 v[16:17], 3, v[16:17]
	v_add_u32_e32 v22, s41, v14
	v_mov_b32_e32 v21, s15
	v_add_co_u32_e32 v16, vcc, s14, v16
	v_ashrrev_i32_e32 v23, 31, v22
	v_addc_co_u32_e32 v17, vcc, v21, v17, vcc
	v_lshlrev_b64 v[22:23], 3, v[22:23]
	v_mov_b32_e32 v21, s19
	v_add_co_u32_e32 v22, vcc, s18, v22
	v_addc_co_u32_e32 v23, vcc, v21, v23, vcc
	global_load_dwordx2 v[16:17], v[16:17], off
	v_add_co_u32_e32 v14, vcc, 16, v14
	global_load_dwordx2 v[22:23], v[22:23], off
	v_addc_co_u32_e32 v15, vcc, 0, v15, vcc
	v_cmp_le_i32_e32 vcc, s17, v14
	s_or_b64 s[30:31], vcc, s[30:31]
	v_add_u32_e32 v20, s40, v20
	s_waitcnt vmcnt(0)
	v_fmac_f64_e32 v[8:9], v[16:17], v[22:23]
	s_andn2_b64 exec, exec, s[30:31]
	s_cbranch_execz .LBB16_12
.LBB16_17:                              ;   Parent Loop BB16_10 Depth=1
                                        ;     Parent Loop BB16_14 Depth=2
                                        ; =>    This Inner Loop Header: Depth=3
	s_and_b64 vcc, exec, s[24:25]
	s_cbranch_vccz .LBB16_19
; %bb.18:                               ;   in Loop: Header=BB16_17 Depth=3
	v_ashrrev_i32_e32 v17, 31, v20
	v_add_co_u32_e32 v16, vcc, v12, v20
	v_addc_co_u32_e32 v17, vcc, v13, v17, vcc
	s_cbranch_execnz .LBB16_16
	s_branch .LBB16_20
.LBB16_19:                              ;   in Loop: Header=BB16_17 Depth=3
                                        ; implicit-def: $vgpr16_vgpr17
.LBB16_20:                              ;   in Loop: Header=BB16_17 Depth=3
	v_add_co_u32_e32 v16, vcc, v10, v14
	v_addc_co_u32_e32 v17, vcc, v11, v15, vcc
	s_branch .LBB16_16
.LBB16_21:                              ;   in Loop: Header=BB16_10 Depth=1
	s_nop 0
	v_mov_b32_dpp v10, v8 row_shr:1 row_mask:0xf bank_mask:0xf
	v_mov_b32_dpp v11, v9 row_shr:1 row_mask:0xf bank_mask:0xf
	v_add_f64 v[8:9], v[8:9], v[10:11]
	s_nop 1
	v_mov_b32_dpp v10, v8 row_shr:2 row_mask:0xf bank_mask:0xf
	v_mov_b32_dpp v11, v9 row_shr:2 row_mask:0xf bank_mask:0xf
	v_add_f64 v[8:9], v[8:9], v[10:11]
	;; [unrolled: 4-line block ×3, first 2 shown]
	s_nop 1
	v_mov_b32_dpp v10, v8 row_shr:8 row_mask:0xf bank_mask:0xc
	v_mov_b32_dpp v11, v9 row_shr:8 row_mask:0xf bank_mask:0xc
	s_and_saveexec_b64 s[26:27], s[2:3]
	s_cbranch_execz .LBB16_9
; %bb.22:                               ;   in Loop: Header=BB16_10 Depth=1
	v_add_f64 v[8:9], v[8:9], v[10:11]
	v_add_u32_e32 v10, s37, v6
	v_mul_f64 v[8:9], v[2:3], v[8:9]
	v_ashrrev_i32_e32 v11, 31, v10
	s_and_saveexec_b64 s[28:29], s[4:5]
	s_xor_b64 s[28:29], exec, s[28:29]
	s_cbranch_execz .LBB16_24
; %bb.23:                               ;   in Loop: Header=BB16_10 Depth=1
	v_lshlrev_b64 v[10:11], 3, v[10:11]
	v_mov_b32_e32 v7, s9
	v_add_co_u32_e32 v10, vcc, s8, v10
	v_addc_co_u32_e32 v11, vcc, v7, v11, vcc
	global_store_dwordx2 v[10:11], v[8:9], off
                                        ; implicit-def: $vgpr10
                                        ; implicit-def: $vgpr8_vgpr9
.LBB16_24:                              ;   in Loop: Header=BB16_10 Depth=1
	s_andn2_saveexec_b64 s[28:29], s[28:29]
	s_cbranch_execz .LBB16_9
; %bb.25:                               ;   in Loop: Header=BB16_10 Depth=1
	v_lshlrev_b64 v[10:11], 3, v[10:11]
	v_mov_b32_e32 v7, s9
	v_add_co_u32_e32 v10, vcc, s8, v10
	v_addc_co_u32_e32 v11, vcc, v7, v11, vcc
	global_load_dwordx2 v[12:13], v[10:11], off
	s_waitcnt vmcnt(0)
	v_fmac_f64_e32 v[8:9], v[4:5], v[12:13]
	global_store_dwordx2 v[10:11], v[8:9], off
	s_branch .LBB16_9
.LBB16_26:
	s_endpgm
	.section	.rodata,"a",@progbits
	.p2align	6, 0x0
	.amdhsa_kernel _ZN9rocsparseL22bsrxmvn_general_kernelILj256ELj16EdlidddEEv20rocsparse_direction_NS_24const_host_device_scalarIT1_EET3_PKS5_PKT2_SA_S7_PKT4_S5_PKT5_S4_PT6_21rocsparse_index_base_b
		.amdhsa_group_segment_fixed_size 0
		.amdhsa_private_segment_fixed_size 0
		.amdhsa_kernarg_size 104
		.amdhsa_user_sgpr_count 6
		.amdhsa_user_sgpr_private_segment_buffer 1
		.amdhsa_user_sgpr_dispatch_ptr 0
		.amdhsa_user_sgpr_queue_ptr 0
		.amdhsa_user_sgpr_kernarg_segment_ptr 1
		.amdhsa_user_sgpr_dispatch_id 0
		.amdhsa_user_sgpr_flat_scratch_init 0
		.amdhsa_user_sgpr_kernarg_preload_length 0
		.amdhsa_user_sgpr_kernarg_preload_offset 0
		.amdhsa_user_sgpr_private_segment_size 0
		.amdhsa_uses_dynamic_stack 0
		.amdhsa_system_sgpr_private_segment_wavefront_offset 0
		.amdhsa_system_sgpr_workgroup_id_x 1
		.amdhsa_system_sgpr_workgroup_id_y 0
		.amdhsa_system_sgpr_workgroup_id_z 0
		.amdhsa_system_sgpr_workgroup_info 0
		.amdhsa_system_vgpr_workitem_id 0
		.amdhsa_next_free_vgpr 24
		.amdhsa_next_free_sgpr 42
		.amdhsa_accum_offset 24
		.amdhsa_reserve_vcc 1
		.amdhsa_reserve_flat_scratch 0
		.amdhsa_float_round_mode_32 0
		.amdhsa_float_round_mode_16_64 0
		.amdhsa_float_denorm_mode_32 3
		.amdhsa_float_denorm_mode_16_64 3
		.amdhsa_dx10_clamp 1
		.amdhsa_ieee_mode 1
		.amdhsa_fp16_overflow 0
		.amdhsa_tg_split 0
		.amdhsa_exception_fp_ieee_invalid_op 0
		.amdhsa_exception_fp_denorm_src 0
		.amdhsa_exception_fp_ieee_div_zero 0
		.amdhsa_exception_fp_ieee_overflow 0
		.amdhsa_exception_fp_ieee_underflow 0
		.amdhsa_exception_fp_ieee_inexact 0
		.amdhsa_exception_int_div_zero 0
	.end_amdhsa_kernel
	.section	.text._ZN9rocsparseL22bsrxmvn_general_kernelILj256ELj16EdlidddEEv20rocsparse_direction_NS_24const_host_device_scalarIT1_EET3_PKS5_PKT2_SA_S7_PKT4_S5_PKT5_S4_PT6_21rocsparse_index_base_b,"axG",@progbits,_ZN9rocsparseL22bsrxmvn_general_kernelILj256ELj16EdlidddEEv20rocsparse_direction_NS_24const_host_device_scalarIT1_EET3_PKS5_PKT2_SA_S7_PKT4_S5_PKT5_S4_PT6_21rocsparse_index_base_b,comdat
.Lfunc_end16:
	.size	_ZN9rocsparseL22bsrxmvn_general_kernelILj256ELj16EdlidddEEv20rocsparse_direction_NS_24const_host_device_scalarIT1_EET3_PKS5_PKT2_SA_S7_PKT4_S5_PKT5_S4_PT6_21rocsparse_index_base_b, .Lfunc_end16-_ZN9rocsparseL22bsrxmvn_general_kernelILj256ELj16EdlidddEEv20rocsparse_direction_NS_24const_host_device_scalarIT1_EET3_PKS5_PKT2_SA_S7_PKT4_S5_PKT5_S4_PT6_21rocsparse_index_base_b
                                        ; -- End function
	.section	.AMDGPU.csdata,"",@progbits
; Kernel info:
; codeLenInByte = 1052
; NumSgprs: 46
; NumVgprs: 24
; NumAgprs: 0
; TotalNumVgprs: 24
; ScratchSize: 0
; MemoryBound: 0
; FloatMode: 240
; IeeeMode: 1
; LDSByteSize: 0 bytes/workgroup (compile time only)
; SGPRBlocks: 5
; VGPRBlocks: 2
; NumSGPRsForWavesPerEU: 46
; NumVGPRsForWavesPerEU: 24
; AccumOffset: 24
; Occupancy: 8
; WaveLimiterHint : 1
; COMPUTE_PGM_RSRC2:SCRATCH_EN: 0
; COMPUTE_PGM_RSRC2:USER_SGPR: 6
; COMPUTE_PGM_RSRC2:TRAP_HANDLER: 0
; COMPUTE_PGM_RSRC2:TGID_X_EN: 1
; COMPUTE_PGM_RSRC2:TGID_Y_EN: 0
; COMPUTE_PGM_RSRC2:TGID_Z_EN: 0
; COMPUTE_PGM_RSRC2:TIDIG_COMP_CNT: 0
; COMPUTE_PGM_RSRC3_GFX90A:ACCUM_OFFSET: 5
; COMPUTE_PGM_RSRC3_GFX90A:TG_SPLIT: 0
	.section	.text._ZN9rocsparseL22bsrxmvn_general_kernelILj1024ELj32EdlidddEEv20rocsparse_direction_NS_24const_host_device_scalarIT1_EET3_PKS5_PKT2_SA_S7_PKT4_S5_PKT5_S4_PT6_21rocsparse_index_base_b,"axG",@progbits,_ZN9rocsparseL22bsrxmvn_general_kernelILj1024ELj32EdlidddEEv20rocsparse_direction_NS_24const_host_device_scalarIT1_EET3_PKS5_PKT2_SA_S7_PKT4_S5_PKT5_S4_PT6_21rocsparse_index_base_b,comdat
	.globl	_ZN9rocsparseL22bsrxmvn_general_kernelILj1024ELj32EdlidddEEv20rocsparse_direction_NS_24const_host_device_scalarIT1_EET3_PKS5_PKT2_SA_S7_PKT4_S5_PKT5_S4_PT6_21rocsparse_index_base_b ; -- Begin function _ZN9rocsparseL22bsrxmvn_general_kernelILj1024ELj32EdlidddEEv20rocsparse_direction_NS_24const_host_device_scalarIT1_EET3_PKS5_PKT2_SA_S7_PKT4_S5_PKT5_S4_PT6_21rocsparse_index_base_b
	.p2align	8
	.type	_ZN9rocsparseL22bsrxmvn_general_kernelILj1024ELj32EdlidddEEv20rocsparse_direction_NS_24const_host_device_scalarIT1_EET3_PKS5_PKT2_SA_S7_PKT4_S5_PKT5_S4_PT6_21rocsparse_index_base_b,@function
_ZN9rocsparseL22bsrxmvn_general_kernelILj1024ELj32EdlidddEEv20rocsparse_direction_NS_24const_host_device_scalarIT1_EET3_PKS5_PKT2_SA_S7_PKT4_S5_PKT5_S4_PT6_21rocsparse_index_base_b: ; @_ZN9rocsparseL22bsrxmvn_general_kernelILj1024ELj32EdlidddEEv20rocsparse_direction_NS_24const_host_device_scalarIT1_EET3_PKS5_PKT2_SA_S7_PKT4_S5_PKT5_S4_PT6_21rocsparse_index_base_b
; %bb.0:
	s_load_dwordx2 s[16:17], s[4:5], 0x60
	s_load_dwordx2 s[8:9], s[4:5], 0x8
	;; [unrolled: 1-line block ×3, first 2 shown]
	s_waitcnt lgkmcnt(0)
	s_bitcmp1_b32 s17, 0
	s_cselect_b64 s[10:11], -1, 0
	s_xor_b64 s[2:3], s[10:11], -1
	s_and_b64 vcc, exec, s[10:11]
	v_pk_mov_b32 v[2:3], s[8:9], s[8:9] op_sel:[0,1]
	s_cbranch_vccnz .LBB17_2
; %bb.1:
	v_pk_mov_b32 v[2:3], s[8:9], s[8:9] op_sel:[0,1]
	flat_load_dwordx2 v[2:3], v[2:3]
.LBB17_2:
	s_andn2_b64 vcc, exec, s[2:3]
	v_pk_mov_b32 v[4:5], s[0:1], s[0:1] op_sel:[0,1]
	s_cbranch_vccnz .LBB17_4
; %bb.3:
	v_pk_mov_b32 v[4:5], s[0:1], s[0:1] op_sel:[0,1]
	flat_load_dwordx2 v[4:5], v[4:5]
.LBB17_4:
	s_waitcnt vmcnt(0) lgkmcnt(0)
	v_cmp_neq_f64_e32 vcc, 0, v[2:3]
	v_cmp_neq_f64_e64 s[0:1], 1.0, v[4:5]
	s_or_b64 s[0:1], vcc, s[0:1]
	s_and_saveexec_b64 s[2:3], s[0:1]
	s_cbranch_execz .LBB17_26
; %bb.5:
	s_load_dwordx2 s[0:1], s[4:5], 0x18
	s_waitcnt lgkmcnt(0)
	s_cmp_eq_u64 s[0:1], 0
	s_cbranch_scc1 .LBB17_7
; %bb.6:
	s_ashr_i32 s7, s6, 31
	s_lshl_b64 s[2:3], s[6:7], 2
	s_add_u32 s0, s0, s2
	s_addc_u32 s1, s1, s3
	s_load_dword s0, s[0:1], 0x0
	s_waitcnt lgkmcnt(0)
	s_sub_i32 s6, s0, s16
.LBB17_7:
	s_load_dword s17, s[4:5], 0x40
	v_lshrrev_b32_e32 v6, 5, v0
	s_waitcnt lgkmcnt(0)
	v_cmp_gt_i32_e32 vcc, s17, v6
	s_and_b64 exec, exec, vcc
	s_cbranch_execz .LBB17_26
; %bb.8:
	s_load_dwordx8 s[8:15], s[4:5], 0x20
	s_ashr_i32 s7, s6, 31
	s_lshl_b64 s[0:1], s[6:7], 3
	s_mul_hi_u32 s33, s17, s17
	s_mul_i32 s36, s17, s17
	s_waitcnt lgkmcnt(0)
	s_add_u32 s2, s8, s0
	s_addc_u32 s3, s9, s1
	s_load_dwordx2 s[26:27], s[2:3], 0x0
	s_load_dwordx2 s[8:9], s[4:5], 0x58
	;; [unrolled: 1-line block ×3, first 2 shown]
	s_mul_i32 s37, s6, s17
	v_and_b32_e32 v0, 31, v0
	s_waitcnt lgkmcnt(0)
	s_sub_u32 s22, s26, s16
	s_subb_u32 s23, s27, 0
	s_add_u32 s2, s2, 8
	s_addc_u32 s3, s3, 0
	s_add_u32 s0, s10, s0
	s_addc_u32 s1, s11, s1
	s_cmp_eq_u64 s[10:11], 0
	s_cselect_b32 s1, s3, s1
	s_cselect_b32 s0, s2, s0
	s_load_dwordx2 s[2:3], s[0:1], 0x0
	s_load_dword s7, s[4:5], 0x0
	s_mul_i32 s6, s22, s33
	v_mov_b32_e32 v7, 0
	s_mov_b64 s[20:21], 0
	s_waitcnt lgkmcnt(0)
	s_sub_u32 s10, s2, s16
	v_pk_mov_b32 v[8:9], s[2:3], s[2:3] op_sel:[0,1]
	s_subb_u32 s11, s3, 0
	s_cmp_lg_u32 s7, 0
	s_mul_hi_u32 s7, s22, s36
	v_cmp_lt_i64_e32 vcc, s[26:27], v[8:9]
	s_cselect_b64 s[24:25], -1, 0
	s_add_i32 s6, s7, s6
	s_mul_i32 s7, s23, s36
	v_cndmask_b32_e64 v8, 0, 1, vcc
	v_cmp_gt_u32_e64 s[0:1], s17, v0
	v_cmp_eq_u32_e64 s[2:3], 31, v0
	v_cmp_eq_f64_e64 s[4:5], 0, v[4:5]
	s_add_i32 s38, s6, s7
	s_mul_i32 s39, s22, s36
	v_mul_lo_u32 v18, s17, v6
	s_lshl_b32 s40, s17, 5
	v_mov_b32_e32 v1, v7
	v_mul_lo_u32 v19, s17, v0
	v_cmp_ne_u32_e64 s[6:7], 1, v8
	s_branch .LBB17_10
.LBB17_9:                               ;   in Loop: Header=BB17_10 Depth=1
	s_or_b64 exec, exec, s[26:27]
	v_add_u32_e32 v6, 32, v6
	v_cmp_le_i32_e32 vcc, s17, v6
	s_or_b64 s[20:21], vcc, s[20:21]
	v_add_u32_e32 v18, s40, v18
	s_andn2_b64 exec, exec, s[20:21]
	s_cbranch_execz .LBB17_26
.LBB17_10:                              ; =>This Loop Header: Depth=1
                                        ;     Child Loop BB17_14 Depth 2
                                        ;       Child Loop BB17_17 Depth 3
	s_and_b64 vcc, exec, s[6:7]
	v_pk_mov_b32 v[8:9], 0, 0
	s_cbranch_vccnz .LBB17_21
; %bb.11:                               ;   in Loop: Header=BB17_10 Depth=1
	v_ashrrev_i32_e32 v8, 31, v18
	v_mov_b32_e32 v9, s38
	v_add_co_u32_e32 v10, vcc, s39, v18
	v_addc_co_u32_e32 v11, vcc, v9, v8, vcc
	v_pk_mov_b32 v[8:9], 0, 0
	s_mov_b64 s[26:27], s[22:23]
	s_branch .LBB17_14
.LBB17_12:                              ;   in Loop: Header=BB17_14 Depth=2
	s_or_b64 exec, exec, s[30:31]
.LBB17_13:                              ;   in Loop: Header=BB17_14 Depth=2
	s_or_b64 exec, exec, s[28:29]
	s_add_u32 s26, s26, 1
	v_mov_b32_e32 v12, s33
	v_add_co_u32_e32 v10, vcc, s36, v10
	s_addc_u32 s27, s27, 0
	v_addc_co_u32_e32 v11, vcc, v11, v12, vcc
	v_pk_mov_b32 v[12:13], s[10:11], s[10:11] op_sel:[0,1]
	v_cmp_ge_i64_e32 vcc, s[26:27], v[12:13]
	s_cbranch_vccnz .LBB17_21
.LBB17_14:                              ;   Parent Loop BB17_10 Depth=1
                                        ; =>  This Loop Header: Depth=2
                                        ;       Child Loop BB17_17 Depth 3
	s_and_saveexec_b64 s[28:29], s[0:1]
	s_cbranch_execz .LBB17_13
; %bb.15:                               ;   in Loop: Header=BB17_14 Depth=2
	s_lshl_b64 s[30:31], s[26:27], 2
	s_add_u32 s30, s12, s30
	s_addc_u32 s31, s13, s31
	s_load_dword s30, s[30:31], 0x0
	s_mul_i32 s31, s33, s26
	s_mul_i32 s34, s36, s27
	v_mov_b32_e32 v12, s26
	s_add_i32 s34, s34, s31
	s_waitcnt lgkmcnt(0)
	s_sub_i32 s35, s30, s16
	v_mad_u64_u32 v[12:13], s[30:31], s36, v12, v[6:7]
	v_add_u32_e32 v13, s34, v13
	s_mul_i32 s41, s35, s17
	s_mov_b64 s[30:31], 0
	v_mov_b32_e32 v20, v19
	v_pk_mov_b32 v[14:15], v[0:1], v[0:1] op_sel:[0,1]
	s_branch .LBB17_17
.LBB17_16:                              ;   in Loop: Header=BB17_17 Depth=3
	v_lshlrev_b64 v[16:17], 3, v[16:17]
	v_add_u32_e32 v22, s41, v14
	v_mov_b32_e32 v21, s15
	v_add_co_u32_e32 v16, vcc, s14, v16
	v_ashrrev_i32_e32 v23, 31, v22
	v_addc_co_u32_e32 v17, vcc, v21, v17, vcc
	v_lshlrev_b64 v[22:23], 3, v[22:23]
	v_mov_b32_e32 v21, s19
	v_add_co_u32_e32 v22, vcc, s18, v22
	v_addc_co_u32_e32 v23, vcc, v21, v23, vcc
	global_load_dwordx2 v[16:17], v[16:17], off
	v_add_co_u32_e32 v14, vcc, 32, v14
	global_load_dwordx2 v[22:23], v[22:23], off
	v_addc_co_u32_e32 v15, vcc, 0, v15, vcc
	v_cmp_le_i32_e32 vcc, s17, v14
	s_or_b64 s[30:31], vcc, s[30:31]
	v_add_u32_e32 v20, s40, v20
	s_waitcnt vmcnt(0)
	v_fmac_f64_e32 v[8:9], v[16:17], v[22:23]
	s_andn2_b64 exec, exec, s[30:31]
	s_cbranch_execz .LBB17_12
.LBB17_17:                              ;   Parent Loop BB17_10 Depth=1
                                        ;     Parent Loop BB17_14 Depth=2
                                        ; =>    This Inner Loop Header: Depth=3
	s_and_b64 vcc, exec, s[24:25]
	s_cbranch_vccz .LBB17_19
; %bb.18:                               ;   in Loop: Header=BB17_17 Depth=3
	v_ashrrev_i32_e32 v17, 31, v20
	v_add_co_u32_e32 v16, vcc, v12, v20
	v_addc_co_u32_e32 v17, vcc, v13, v17, vcc
	s_cbranch_execnz .LBB17_16
	s_branch .LBB17_20
.LBB17_19:                              ;   in Loop: Header=BB17_17 Depth=3
                                        ; implicit-def: $vgpr16_vgpr17
.LBB17_20:                              ;   in Loop: Header=BB17_17 Depth=3
	v_add_co_u32_e32 v16, vcc, v10, v14
	v_addc_co_u32_e32 v17, vcc, v11, v15, vcc
	s_branch .LBB17_16
.LBB17_21:                              ;   in Loop: Header=BB17_10 Depth=1
	s_nop 0
	v_mov_b32_dpp v10, v8 row_shr:1 row_mask:0xf bank_mask:0xf
	v_mov_b32_dpp v11, v9 row_shr:1 row_mask:0xf bank_mask:0xf
	v_add_f64 v[8:9], v[8:9], v[10:11]
	s_nop 1
	v_mov_b32_dpp v10, v8 row_shr:2 row_mask:0xf bank_mask:0xf
	v_mov_b32_dpp v11, v9 row_shr:2 row_mask:0xf bank_mask:0xf
	v_add_f64 v[8:9], v[8:9], v[10:11]
	;; [unrolled: 4-line block ×4, first 2 shown]
	s_nop 1
	v_mov_b32_dpp v10, v8 row_bcast:15 row_mask:0xa bank_mask:0xf
	v_mov_b32_dpp v11, v9 row_bcast:15 row_mask:0xa bank_mask:0xf
	s_and_saveexec_b64 s[26:27], s[2:3]
	s_cbranch_execz .LBB17_9
; %bb.22:                               ;   in Loop: Header=BB17_10 Depth=1
	v_add_f64 v[8:9], v[8:9], v[10:11]
	v_add_u32_e32 v10, s37, v6
	v_mul_f64 v[8:9], v[2:3], v[8:9]
	v_ashrrev_i32_e32 v11, 31, v10
	s_and_saveexec_b64 s[28:29], s[4:5]
	s_xor_b64 s[28:29], exec, s[28:29]
	s_cbranch_execz .LBB17_24
; %bb.23:                               ;   in Loop: Header=BB17_10 Depth=1
	v_lshlrev_b64 v[10:11], 3, v[10:11]
	v_mov_b32_e32 v12, s9
	v_add_co_u32_e32 v10, vcc, s8, v10
	v_addc_co_u32_e32 v11, vcc, v12, v11, vcc
	global_store_dwordx2 v[10:11], v[8:9], off
                                        ; implicit-def: $vgpr10
                                        ; implicit-def: $vgpr8_vgpr9
.LBB17_24:                              ;   in Loop: Header=BB17_10 Depth=1
	s_andn2_saveexec_b64 s[28:29], s[28:29]
	s_cbranch_execz .LBB17_9
; %bb.25:                               ;   in Loop: Header=BB17_10 Depth=1
	v_lshlrev_b64 v[10:11], 3, v[10:11]
	v_mov_b32_e32 v12, s9
	v_add_co_u32_e32 v10, vcc, s8, v10
	v_addc_co_u32_e32 v11, vcc, v12, v11, vcc
	global_load_dwordx2 v[12:13], v[10:11], off
	s_waitcnt vmcnt(0)
	v_fmac_f64_e32 v[8:9], v[4:5], v[12:13]
	global_store_dwordx2 v[10:11], v[8:9], off
	s_branch .LBB17_9
.LBB17_26:
	s_endpgm
	.section	.rodata,"a",@progbits
	.p2align	6, 0x0
	.amdhsa_kernel _ZN9rocsparseL22bsrxmvn_general_kernelILj1024ELj32EdlidddEEv20rocsparse_direction_NS_24const_host_device_scalarIT1_EET3_PKS5_PKT2_SA_S7_PKT4_S5_PKT5_S4_PT6_21rocsparse_index_base_b
		.amdhsa_group_segment_fixed_size 0
		.amdhsa_private_segment_fixed_size 0
		.amdhsa_kernarg_size 104
		.amdhsa_user_sgpr_count 6
		.amdhsa_user_sgpr_private_segment_buffer 1
		.amdhsa_user_sgpr_dispatch_ptr 0
		.amdhsa_user_sgpr_queue_ptr 0
		.amdhsa_user_sgpr_kernarg_segment_ptr 1
		.amdhsa_user_sgpr_dispatch_id 0
		.amdhsa_user_sgpr_flat_scratch_init 0
		.amdhsa_user_sgpr_kernarg_preload_length 0
		.amdhsa_user_sgpr_kernarg_preload_offset 0
		.amdhsa_user_sgpr_private_segment_size 0
		.amdhsa_uses_dynamic_stack 0
		.amdhsa_system_sgpr_private_segment_wavefront_offset 0
		.amdhsa_system_sgpr_workgroup_id_x 1
		.amdhsa_system_sgpr_workgroup_id_y 0
		.amdhsa_system_sgpr_workgroup_id_z 0
		.amdhsa_system_sgpr_workgroup_info 0
		.amdhsa_system_vgpr_workitem_id 0
		.amdhsa_next_free_vgpr 24
		.amdhsa_next_free_sgpr 42
		.amdhsa_accum_offset 24
		.amdhsa_reserve_vcc 1
		.amdhsa_reserve_flat_scratch 0
		.amdhsa_float_round_mode_32 0
		.amdhsa_float_round_mode_16_64 0
		.amdhsa_float_denorm_mode_32 3
		.amdhsa_float_denorm_mode_16_64 3
		.amdhsa_dx10_clamp 1
		.amdhsa_ieee_mode 1
		.amdhsa_fp16_overflow 0
		.amdhsa_tg_split 0
		.amdhsa_exception_fp_ieee_invalid_op 0
		.amdhsa_exception_fp_denorm_src 0
		.amdhsa_exception_fp_ieee_div_zero 0
		.amdhsa_exception_fp_ieee_overflow 0
		.amdhsa_exception_fp_ieee_underflow 0
		.amdhsa_exception_fp_ieee_inexact 0
		.amdhsa_exception_int_div_zero 0
	.end_amdhsa_kernel
	.section	.text._ZN9rocsparseL22bsrxmvn_general_kernelILj1024ELj32EdlidddEEv20rocsparse_direction_NS_24const_host_device_scalarIT1_EET3_PKS5_PKT2_SA_S7_PKT4_S5_PKT5_S4_PT6_21rocsparse_index_base_b,"axG",@progbits,_ZN9rocsparseL22bsrxmvn_general_kernelILj1024ELj32EdlidddEEv20rocsparse_direction_NS_24const_host_device_scalarIT1_EET3_PKS5_PKT2_SA_S7_PKT4_S5_PKT5_S4_PT6_21rocsparse_index_base_b,comdat
.Lfunc_end17:
	.size	_ZN9rocsparseL22bsrxmvn_general_kernelILj1024ELj32EdlidddEEv20rocsparse_direction_NS_24const_host_device_scalarIT1_EET3_PKS5_PKT2_SA_S7_PKT4_S5_PKT5_S4_PT6_21rocsparse_index_base_b, .Lfunc_end17-_ZN9rocsparseL22bsrxmvn_general_kernelILj1024ELj32EdlidddEEv20rocsparse_direction_NS_24const_host_device_scalarIT1_EET3_PKS5_PKT2_SA_S7_PKT4_S5_PKT5_S4_PT6_21rocsparse_index_base_b
                                        ; -- End function
	.section	.AMDGPU.csdata,"",@progbits
; Kernel info:
; codeLenInByte = 1080
; NumSgprs: 46
; NumVgprs: 24
; NumAgprs: 0
; TotalNumVgprs: 24
; ScratchSize: 0
; MemoryBound: 0
; FloatMode: 240
; IeeeMode: 1
; LDSByteSize: 0 bytes/workgroup (compile time only)
; SGPRBlocks: 5
; VGPRBlocks: 2
; NumSGPRsForWavesPerEU: 46
; NumVGPRsForWavesPerEU: 24
; AccumOffset: 24
; Occupancy: 8
; WaveLimiterHint : 1
; COMPUTE_PGM_RSRC2:SCRATCH_EN: 0
; COMPUTE_PGM_RSRC2:USER_SGPR: 6
; COMPUTE_PGM_RSRC2:TRAP_HANDLER: 0
; COMPUTE_PGM_RSRC2:TGID_X_EN: 1
; COMPUTE_PGM_RSRC2:TGID_Y_EN: 0
; COMPUTE_PGM_RSRC2:TGID_Z_EN: 0
; COMPUTE_PGM_RSRC2:TIDIG_COMP_CNT: 0
; COMPUTE_PGM_RSRC3_GFX90A:ACCUM_OFFSET: 5
; COMPUTE_PGM_RSRC3_GFX90A:TG_SPLIT: 0
	.section	.text._ZN9rocsparseL22bsrxmvn_general_kernelILj64ELj8E21rocsparse_complex_numIfEliS2_S2_S2_EEv20rocsparse_direction_NS_24const_host_device_scalarIT1_EET3_PKS7_PKT2_SC_S9_PKT4_S7_PKT5_S6_PT6_21rocsparse_index_base_b,"axG",@progbits,_ZN9rocsparseL22bsrxmvn_general_kernelILj64ELj8E21rocsparse_complex_numIfEliS2_S2_S2_EEv20rocsparse_direction_NS_24const_host_device_scalarIT1_EET3_PKS7_PKT2_SC_S9_PKT4_S7_PKT5_S6_PT6_21rocsparse_index_base_b,comdat
	.globl	_ZN9rocsparseL22bsrxmvn_general_kernelILj64ELj8E21rocsparse_complex_numIfEliS2_S2_S2_EEv20rocsparse_direction_NS_24const_host_device_scalarIT1_EET3_PKS7_PKT2_SC_S9_PKT4_S7_PKT5_S6_PT6_21rocsparse_index_base_b ; -- Begin function _ZN9rocsparseL22bsrxmvn_general_kernelILj64ELj8E21rocsparse_complex_numIfEliS2_S2_S2_EEv20rocsparse_direction_NS_24const_host_device_scalarIT1_EET3_PKS7_PKT2_SC_S9_PKT4_S7_PKT5_S6_PT6_21rocsparse_index_base_b
	.p2align	8
	.type	_ZN9rocsparseL22bsrxmvn_general_kernelILj64ELj8E21rocsparse_complex_numIfEliS2_S2_S2_EEv20rocsparse_direction_NS_24const_host_device_scalarIT1_EET3_PKS7_PKT2_SC_S9_PKT4_S7_PKT5_S6_PT6_21rocsparse_index_base_b,@function
_ZN9rocsparseL22bsrxmvn_general_kernelILj64ELj8E21rocsparse_complex_numIfEliS2_S2_S2_EEv20rocsparse_direction_NS_24const_host_device_scalarIT1_EET3_PKS7_PKT2_SC_S9_PKT4_S7_PKT5_S6_PT6_21rocsparse_index_base_b: ; @_ZN9rocsparseL22bsrxmvn_general_kernelILj64ELj8E21rocsparse_complex_numIfEliS2_S2_S2_EEv20rocsparse_direction_NS_24const_host_device_scalarIT1_EET3_PKS7_PKT2_SC_S9_PKT4_S7_PKT5_S6_PT6_21rocsparse_index_base_b
; %bb.0:
	s_load_dwordx2 s[16:17], s[4:5], 0x60
	s_load_dwordx2 s[8:9], s[4:5], 0x8
	;; [unrolled: 1-line block ×3, first 2 shown]
	s_waitcnt lgkmcnt(0)
	s_bitcmp1_b32 s17, 0
	s_cselect_b64 s[0:1], -1, 0
	s_xor_b64 s[10:11], s[0:1], -1
	s_and_b64 vcc, exec, s[0:1]
	v_mov_b32_e32 v2, s8
	s_cbranch_vccnz .LBB18_2
; %bb.1:
	v_pk_mov_b32 v[2:3], s[8:9], s[8:9] op_sel:[0,1]
	flat_load_dword v2, v[2:3]
.LBB18_2:
	v_cndmask_b32_e64 v1, 0, 1, s[10:11]
	v_cmp_ne_u32_e64 s[0:1], 1, v1
	s_andn2_b64 vcc, exec, s[10:11]
	v_mov_b32_e32 v3, s9
	s_cbranch_vccz .LBB18_31
; %bb.3:
	s_and_b64 vcc, exec, s[0:1]
	v_mov_b32_e32 v4, s2
	s_cbranch_vccz .LBB18_32
.LBB18_4:
	s_and_b64 vcc, exec, s[0:1]
	v_mov_b32_e32 v5, s3
	s_cbranch_vccnz .LBB18_6
.LBB18_5:
	v_pk_mov_b32 v[6:7], s[2:3], s[2:3] op_sel:[0,1]
	flat_load_dword v5, v[6:7] offset:4
.LBB18_6:
	s_waitcnt vmcnt(0) lgkmcnt(0)
	v_and_b32_e32 v1, 0x7fffffff, v2
	v_cmp_eq_u32_e32 vcc, 0, v1
	v_cmp_eq_f32_e64 s[0:1], 0, v3
	s_and_b64 s[8:9], vcc, s[0:1]
	s_mov_b64 s[0:1], -1
	s_and_saveexec_b64 s[2:3], s[8:9]
; %bb.7:
	v_and_b32_e32 v1, 0x7fffffff, v5
	v_cmp_neq_f32_e32 vcc, 1.0, v4
	v_cmp_ne_u32_e64 s[0:1], 0, v1
	s_or_b64 s[0:1], vcc, s[0:1]
	s_orn2_b64 s[0:1], s[0:1], exec
; %bb.8:
	s_or_b64 exec, exec, s[2:3]
	s_and_saveexec_b64 s[2:3], s[0:1]
	s_cbranch_execz .LBB18_30
; %bb.9:
	s_load_dwordx2 s[0:1], s[4:5], 0x18
	s_waitcnt lgkmcnt(0)
	s_cmp_eq_u64 s[0:1], 0
	s_cbranch_scc1 .LBB18_11
; %bb.10:
	s_ashr_i32 s7, s6, 31
	s_lshl_b64 s[2:3], s[6:7], 2
	s_add_u32 s0, s0, s2
	s_addc_u32 s1, s1, s3
	s_load_dword s0, s[0:1], 0x0
	s_waitcnt lgkmcnt(0)
	s_sub_i32 s6, s0, s16
.LBB18_11:
	s_load_dword s17, s[4:5], 0x40
	v_lshrrev_b32_e32 v6, 3, v0
	s_waitcnt lgkmcnt(0)
	v_cmp_gt_i32_e32 vcc, s17, v6
	s_and_b64 exec, exec, vcc
	s_cbranch_execz .LBB18_30
; %bb.12:
	s_load_dwordx8 s[8:15], s[4:5], 0x20
	s_ashr_i32 s7, s6, 31
	s_lshl_b64 s[0:1], s[6:7], 3
	v_and_b32_e32 v1, 0x7fffffff, v4
	s_mul_hi_u32 s33, s17, s17
	s_waitcnt lgkmcnt(0)
	s_add_u32 s2, s8, s0
	s_addc_u32 s3, s9, s1
	s_load_dwordx2 s[30:31], s[2:3], 0x0
	s_load_dwordx2 s[8:9], s[4:5], 0x58
	;; [unrolled: 1-line block ×3, first 2 shown]
	s_mul_i32 s38, s17, s17
	s_load_dword s4, s[4:5], 0x0
	s_waitcnt lgkmcnt(0)
	s_sub_u32 s24, s30, s16
	s_subb_u32 s25, s31, 0
	s_add_u32 s2, s2, 8
	s_addc_u32 s3, s3, 0
	s_add_u32 s0, s10, s0
	s_addc_u32 s1, s11, s1
	s_cmp_eq_u64 s[10:11], 0
	s_cselect_b32 s1, s3, s1
	s_cselect_b32 s0, s2, s0
	s_load_dwordx2 s[2:3], s[0:1], 0x0
	v_cmp_eq_u32_e32 vcc, 0, v1
	v_and_b32_e32 v0, 7, v0
	s_mov_b32 s20, 0
	s_mov_b64 s[22:23], 0
	s_waitcnt lgkmcnt(0)
	s_sub_u32 s10, s2, s16
	s_subb_u32 s11, s3, 0
	v_pk_mov_b32 v[12:13], s[2:3], s[2:3] op_sel:[0,1]
	s_cmp_lg_u32 s4, 0
	v_cmp_eq_f32_e64 s[4:5], 0, v5
	s_cselect_b64 s[26:27], -1, 0
	s_and_b64 s[28:29], vcc, s[4:5]
	s_mul_i32 s4, s24, s33
	s_mul_hi_u32 s5, s24, s38
	v_cmp_lt_i64_e32 vcc, s[30:31], v[12:13]
	s_add_i32 s4, s5, s4
	s_mul_i32 s5, s25, s38
	v_cndmask_b32_e64 v7, 0, 1, vcc
	v_cmp_gt_u32_e64 s[0:1], s17, v0
	v_cmp_eq_u32_e64 s[2:3], 7, v0
	v_xor_b32_e32 v8, 0x80000000, v3
	s_mul_i32 s39, s6, s17
	v_xor_b32_e32 v10, 0x80000000, v5
	v_mov_b32_e32 v9, v2
	v_mov_b32_e32 v11, v4
	s_add_i32 s40, s4, s5
	s_mul_i32 s41, s24, s38
	v_mul_lo_u32 v22, s17, v6
	s_lshl_b32 s42, s17, 3
	v_mov_b32_e32 v1, 0
	v_mul_lo_u32 v23, s17, v0
	v_cmp_ne_u32_e64 s[4:5], 1, v7
	s_branch .LBB18_14
.LBB18_13:                              ;   in Loop: Header=BB18_14 Depth=1
	s_or_b64 exec, exec, s[6:7]
	v_add_u32_e32 v6, 8, v6
	v_cmp_le_i32_e32 vcc, s17, v6
	s_or_b64 s[22:23], vcc, s[22:23]
	v_add_u32_e32 v22, s42, v22
	s_andn2_b64 exec, exec, s[22:23]
	s_cbranch_execz .LBB18_30
.LBB18_14:                              ; =>This Loop Header: Depth=1
                                        ;     Child Loop BB18_18 Depth 2
                                        ;       Child Loop BB18_21 Depth 3
	s_mov_b32 s21, s20
	s_and_b64 vcc, exec, s[4:5]
	v_pk_mov_b32 v[12:13], s[20:21], s[20:21] op_sel:[0,1]
	s_cbranch_vccnz .LBB18_25
; %bb.15:                               ;   in Loop: Header=BB18_14 Depth=1
	v_ashrrev_i32_e32 v7, 31, v22
	v_mov_b32_e32 v12, s40
	v_add_co_u32_e32 v14, vcc, s41, v22
	v_addc_co_u32_e32 v15, vcc, v12, v7, vcc
	v_ashrrev_i32_e32 v7, 31, v6
	v_pk_mov_b32 v[12:13], s[20:21], s[20:21] op_sel:[0,1]
	s_mov_b64 s[6:7], s[24:25]
	s_branch .LBB18_18
.LBB18_16:                              ;   in Loop: Header=BB18_18 Depth=2
	s_or_b64 exec, exec, s[34:35]
.LBB18_17:                              ;   in Loop: Header=BB18_18 Depth=2
	s_or_b64 exec, exec, s[30:31]
	s_add_u32 s6, s6, 1
	v_mov_b32_e32 v16, s33
	v_add_co_u32_e32 v14, vcc, s38, v14
	s_addc_u32 s7, s7, 0
	v_addc_co_u32_e32 v15, vcc, v15, v16, vcc
	v_pk_mov_b32 v[16:17], s[10:11], s[10:11] op_sel:[0,1]
	v_cmp_ge_i64_e32 vcc, s[6:7], v[16:17]
	s_cbranch_vccnz .LBB18_25
.LBB18_18:                              ;   Parent Loop BB18_14 Depth=1
                                        ; =>  This Loop Header: Depth=2
                                        ;       Child Loop BB18_21 Depth 3
	s_and_saveexec_b64 s[30:31], s[0:1]
	s_cbranch_execz .LBB18_17
; %bb.19:                               ;   in Loop: Header=BB18_18 Depth=2
	s_lshl_b64 s[34:35], s[6:7], 2
	s_add_u32 s34, s12, s34
	s_addc_u32 s35, s13, s35
	s_load_dword s21, s[34:35], 0x0
	s_mul_i32 s34, s33, s6
	s_mul_i32 s35, s38, s7
	v_mov_b32_e32 v16, s6
	s_add_i32 s36, s35, s34
	s_waitcnt lgkmcnt(0)
	s_sub_i32 s21, s21, s16
	v_mad_u64_u32 v[16:17], s[34:35], s38, v16, v[6:7]
	v_add_u32_e32 v17, s36, v17
	s_mul_i32 s21, s21, s17
	s_mov_b64 s[34:35], 0
	v_mov_b32_e32 v24, v23
	v_pk_mov_b32 v[18:19], v[0:1], v[0:1] op_sel:[0,1]
	s_branch .LBB18_21
.LBB18_20:                              ;   in Loop: Header=BB18_21 Depth=3
	v_lshlrev_b64 v[20:21], 3, v[20:21]
	v_add_u32_e32 v26, s21, v18
	v_mov_b32_e32 v25, s15
	v_add_co_u32_e32 v20, vcc, s14, v20
	v_ashrrev_i32_e32 v27, 31, v26
	v_addc_co_u32_e32 v21, vcc, v25, v21, vcc
	v_lshlrev_b64 v[26:27], 3, v[26:27]
	v_mov_b32_e32 v25, s19
	v_add_co_u32_e32 v26, vcc, s18, v26
	v_addc_co_u32_e32 v27, vcc, v25, v27, vcc
	global_load_dwordx2 v[28:29], v[20:21], off
	global_load_dwordx2 v[30:31], v[26:27], off
	v_add_co_u32_e32 v18, vcc, 8, v18
	v_addc_co_u32_e32 v19, vcc, 0, v19, vcc
	v_cmp_le_i32_e32 vcc, s17, v18
	s_or_b64 s[34:35], vcc, s[34:35]
	v_add_u32_e32 v24, s42, v24
	s_waitcnt vmcnt(0)
	v_pk_fma_f32 v[12:13], v[28:29], v[30:31], v[12:13] op_sel_hi:[1,0,1]
	v_pk_fma_f32 v[12:13], v[28:29], v[30:31], v[12:13] op_sel:[1,1,0] op_sel_hi:[0,1,1] neg_lo:[1,0,0]
	s_andn2_b64 exec, exec, s[34:35]
	s_cbranch_execz .LBB18_16
.LBB18_21:                              ;   Parent Loop BB18_14 Depth=1
                                        ;     Parent Loop BB18_18 Depth=2
                                        ; =>    This Inner Loop Header: Depth=3
	s_and_b64 vcc, exec, s[26:27]
	s_cbranch_vccz .LBB18_23
; %bb.22:                               ;   in Loop: Header=BB18_21 Depth=3
	v_ashrrev_i32_e32 v21, 31, v24
	v_add_co_u32_e32 v20, vcc, v16, v24
	v_addc_co_u32_e32 v21, vcc, v17, v21, vcc
	s_cbranch_execnz .LBB18_20
	s_branch .LBB18_24
.LBB18_23:                              ;   in Loop: Header=BB18_21 Depth=3
                                        ; implicit-def: $vgpr20_vgpr21
.LBB18_24:                              ;   in Loop: Header=BB18_21 Depth=3
	v_add_co_u32_e32 v20, vcc, v14, v18
	v_addc_co_u32_e32 v21, vcc, v15, v19, vcc
	s_branch .LBB18_20
.LBB18_25:                              ;   in Loop: Header=BB18_14 Depth=1
	s_nop 0
	v_mov_b32_dpp v7, v12 row_shr:1 row_mask:0xf bank_mask:0xf
	v_mov_b32_dpp v14, v13 row_shr:1 row_mask:0xf bank_mask:0xf
	v_add_f32_e32 v7, v12, v7
	v_add_f32_e32 v13, v13, v14
	s_nop 0
	v_mov_b32_dpp v12, v7 row_shr:2 row_mask:0xf bank_mask:0xf
	v_mov_b32_dpp v14, v13 row_shr:2 row_mask:0xf bank_mask:0xf
	v_add_f32_e32 v7, v7, v12
	v_add_f32_e32 v13, v13, v14
	s_nop 0
	v_mov_b32_dpp v12, v7 row_shr:4 row_mask:0xf bank_mask:0xe
	v_mov_b32_dpp v14, v13 row_shr:4 row_mask:0xf bank_mask:0xe
	s_and_saveexec_b64 s[6:7], s[2:3]
	s_cbranch_execz .LBB18_13
; %bb.26:                               ;   in Loop: Header=BB18_14 Depth=1
	v_add_u32_e32 v16, s39, v6
	v_add_f32_e32 v12, v7, v12
	v_add_f32_e32 v14, v13, v14
	v_ashrrev_i32_e32 v17, 31, v16
	s_and_saveexec_b64 s[30:31], s[28:29]
	s_xor_b64 s[30:31], exec, s[30:31]
	s_cbranch_execz .LBB18_28
; %bb.27:                               ;   in Loop: Header=BB18_14 Depth=1
	v_lshlrev_b64 v[16:17], 3, v[16:17]
	v_mov_b32_e32 v7, s9
	v_add_co_u32_e32 v16, vcc, s8, v16
	v_pk_mul_f32 v[14:15], v[14:15], v[8:9] op_sel_hi:[0,1]
	v_addc_co_u32_e32 v17, vcc, v7, v17, vcc
	v_pk_fma_f32 v[12:13], v[2:3], v[12:13], v[14:15] op_sel_hi:[1,0,1]
	global_store_dwordx2 v[16:17], v[12:13], off
                                        ; implicit-def: $vgpr16
                                        ; implicit-def: $vgpr14
                                        ; implicit-def: $vgpr12
.LBB18_28:                              ;   in Loop: Header=BB18_14 Depth=1
	s_andn2_saveexec_b64 s[30:31], s[30:31]
	s_cbranch_execz .LBB18_13
; %bb.29:                               ;   in Loop: Header=BB18_14 Depth=1
	v_lshlrev_b64 v[16:17], 3, v[16:17]
	v_mov_b32_e32 v7, s9
	v_add_co_u32_e32 v16, vcc, s8, v16
	v_addc_co_u32_e32 v17, vcc, v7, v17, vcc
	global_load_dwordx2 v[18:19], v[16:17], off
	v_pk_mul_f32 v[14:15], v[14:15], v[8:9] op_sel_hi:[0,1]
	v_pk_fma_f32 v[12:13], v[2:3], v[12:13], v[14:15] op_sel_hi:[1,0,1]
	s_waitcnt vmcnt(0)
	v_pk_fma_f32 v[12:13], v[4:5], v[18:19], v[12:13] op_sel_hi:[1,0,1]
	v_pk_fma_f32 v[12:13], v[10:11], v[18:19], v[12:13] op_sel:[0,1,0]
	global_store_dwordx2 v[16:17], v[12:13], off
	s_branch .LBB18_13
.LBB18_30:
	s_endpgm
.LBB18_31:
	v_pk_mov_b32 v[4:5], s[8:9], s[8:9] op_sel:[0,1]
	flat_load_dword v3, v[4:5] offset:4
	s_and_b64 vcc, exec, s[0:1]
	v_mov_b32_e32 v4, s2
	s_cbranch_vccnz .LBB18_4
.LBB18_32:
	v_pk_mov_b32 v[4:5], s[2:3], s[2:3] op_sel:[0,1]
	flat_load_dword v4, v[4:5]
	s_and_b64 vcc, exec, s[0:1]
	v_mov_b32_e32 v5, s3
	s_cbranch_vccz .LBB18_5
	s_branch .LBB18_6
	.section	.rodata,"a",@progbits
	.p2align	6, 0x0
	.amdhsa_kernel _ZN9rocsparseL22bsrxmvn_general_kernelILj64ELj8E21rocsparse_complex_numIfEliS2_S2_S2_EEv20rocsparse_direction_NS_24const_host_device_scalarIT1_EET3_PKS7_PKT2_SC_S9_PKT4_S7_PKT5_S6_PT6_21rocsparse_index_base_b
		.amdhsa_group_segment_fixed_size 0
		.amdhsa_private_segment_fixed_size 0
		.amdhsa_kernarg_size 104
		.amdhsa_user_sgpr_count 6
		.amdhsa_user_sgpr_private_segment_buffer 1
		.amdhsa_user_sgpr_dispatch_ptr 0
		.amdhsa_user_sgpr_queue_ptr 0
		.amdhsa_user_sgpr_kernarg_segment_ptr 1
		.amdhsa_user_sgpr_dispatch_id 0
		.amdhsa_user_sgpr_flat_scratch_init 0
		.amdhsa_user_sgpr_kernarg_preload_length 0
		.amdhsa_user_sgpr_kernarg_preload_offset 0
		.amdhsa_user_sgpr_private_segment_size 0
		.amdhsa_uses_dynamic_stack 0
		.amdhsa_system_sgpr_private_segment_wavefront_offset 0
		.amdhsa_system_sgpr_workgroup_id_x 1
		.amdhsa_system_sgpr_workgroup_id_y 0
		.amdhsa_system_sgpr_workgroup_id_z 0
		.amdhsa_system_sgpr_workgroup_info 0
		.amdhsa_system_vgpr_workitem_id 0
		.amdhsa_next_free_vgpr 32
		.amdhsa_next_free_sgpr 43
		.amdhsa_accum_offset 32
		.amdhsa_reserve_vcc 1
		.amdhsa_reserve_flat_scratch 0
		.amdhsa_float_round_mode_32 0
		.amdhsa_float_round_mode_16_64 0
		.amdhsa_float_denorm_mode_32 3
		.amdhsa_float_denorm_mode_16_64 3
		.amdhsa_dx10_clamp 1
		.amdhsa_ieee_mode 1
		.amdhsa_fp16_overflow 0
		.amdhsa_tg_split 0
		.amdhsa_exception_fp_ieee_invalid_op 0
		.amdhsa_exception_fp_denorm_src 0
		.amdhsa_exception_fp_ieee_div_zero 0
		.amdhsa_exception_fp_ieee_overflow 0
		.amdhsa_exception_fp_ieee_underflow 0
		.amdhsa_exception_fp_ieee_inexact 0
		.amdhsa_exception_int_div_zero 0
	.end_amdhsa_kernel
	.section	.text._ZN9rocsparseL22bsrxmvn_general_kernelILj64ELj8E21rocsparse_complex_numIfEliS2_S2_S2_EEv20rocsparse_direction_NS_24const_host_device_scalarIT1_EET3_PKS7_PKT2_SC_S9_PKT4_S7_PKT5_S6_PT6_21rocsparse_index_base_b,"axG",@progbits,_ZN9rocsparseL22bsrxmvn_general_kernelILj64ELj8E21rocsparse_complex_numIfEliS2_S2_S2_EEv20rocsparse_direction_NS_24const_host_device_scalarIT1_EET3_PKS7_PKT2_SC_S9_PKT4_S7_PKT5_S6_PT6_21rocsparse_index_base_b,comdat
.Lfunc_end18:
	.size	_ZN9rocsparseL22bsrxmvn_general_kernelILj64ELj8E21rocsparse_complex_numIfEliS2_S2_S2_EEv20rocsparse_direction_NS_24const_host_device_scalarIT1_EET3_PKS7_PKT2_SC_S9_PKT4_S7_PKT5_S6_PT6_21rocsparse_index_base_b, .Lfunc_end18-_ZN9rocsparseL22bsrxmvn_general_kernelILj64ELj8E21rocsparse_complex_numIfEliS2_S2_S2_EEv20rocsparse_direction_NS_24const_host_device_scalarIT1_EET3_PKS7_PKT2_SC_S9_PKT4_S7_PKT5_S6_PT6_21rocsparse_index_base_b
                                        ; -- End function
	.section	.AMDGPU.csdata,"",@progbits
; Kernel info:
; codeLenInByte = 1260
; NumSgprs: 47
; NumVgprs: 32
; NumAgprs: 0
; TotalNumVgprs: 32
; ScratchSize: 0
; MemoryBound: 0
; FloatMode: 240
; IeeeMode: 1
; LDSByteSize: 0 bytes/workgroup (compile time only)
; SGPRBlocks: 5
; VGPRBlocks: 3
; NumSGPRsForWavesPerEU: 47
; NumVGPRsForWavesPerEU: 32
; AccumOffset: 32
; Occupancy: 8
; WaveLimiterHint : 1
; COMPUTE_PGM_RSRC2:SCRATCH_EN: 0
; COMPUTE_PGM_RSRC2:USER_SGPR: 6
; COMPUTE_PGM_RSRC2:TRAP_HANDLER: 0
; COMPUTE_PGM_RSRC2:TGID_X_EN: 1
; COMPUTE_PGM_RSRC2:TGID_Y_EN: 0
; COMPUTE_PGM_RSRC2:TGID_Z_EN: 0
; COMPUTE_PGM_RSRC2:TIDIG_COMP_CNT: 0
; COMPUTE_PGM_RSRC3_GFX90A:ACCUM_OFFSET: 7
; COMPUTE_PGM_RSRC3_GFX90A:TG_SPLIT: 0
	.section	.text._ZN9rocsparseL22bsrxmvn_general_kernelILj256ELj16E21rocsparse_complex_numIfEliS2_S2_S2_EEv20rocsparse_direction_NS_24const_host_device_scalarIT1_EET3_PKS7_PKT2_SC_S9_PKT4_S7_PKT5_S6_PT6_21rocsparse_index_base_b,"axG",@progbits,_ZN9rocsparseL22bsrxmvn_general_kernelILj256ELj16E21rocsparse_complex_numIfEliS2_S2_S2_EEv20rocsparse_direction_NS_24const_host_device_scalarIT1_EET3_PKS7_PKT2_SC_S9_PKT4_S7_PKT5_S6_PT6_21rocsparse_index_base_b,comdat
	.globl	_ZN9rocsparseL22bsrxmvn_general_kernelILj256ELj16E21rocsparse_complex_numIfEliS2_S2_S2_EEv20rocsparse_direction_NS_24const_host_device_scalarIT1_EET3_PKS7_PKT2_SC_S9_PKT4_S7_PKT5_S6_PT6_21rocsparse_index_base_b ; -- Begin function _ZN9rocsparseL22bsrxmvn_general_kernelILj256ELj16E21rocsparse_complex_numIfEliS2_S2_S2_EEv20rocsparse_direction_NS_24const_host_device_scalarIT1_EET3_PKS7_PKT2_SC_S9_PKT4_S7_PKT5_S6_PT6_21rocsparse_index_base_b
	.p2align	8
	.type	_ZN9rocsparseL22bsrxmvn_general_kernelILj256ELj16E21rocsparse_complex_numIfEliS2_S2_S2_EEv20rocsparse_direction_NS_24const_host_device_scalarIT1_EET3_PKS7_PKT2_SC_S9_PKT4_S7_PKT5_S6_PT6_21rocsparse_index_base_b,@function
_ZN9rocsparseL22bsrxmvn_general_kernelILj256ELj16E21rocsparse_complex_numIfEliS2_S2_S2_EEv20rocsparse_direction_NS_24const_host_device_scalarIT1_EET3_PKS7_PKT2_SC_S9_PKT4_S7_PKT5_S6_PT6_21rocsparse_index_base_b: ; @_ZN9rocsparseL22bsrxmvn_general_kernelILj256ELj16E21rocsparse_complex_numIfEliS2_S2_S2_EEv20rocsparse_direction_NS_24const_host_device_scalarIT1_EET3_PKS7_PKT2_SC_S9_PKT4_S7_PKT5_S6_PT6_21rocsparse_index_base_b
; %bb.0:
	s_load_dwordx2 s[16:17], s[4:5], 0x60
	s_load_dwordx2 s[8:9], s[4:5], 0x8
	;; [unrolled: 1-line block ×3, first 2 shown]
	s_waitcnt lgkmcnt(0)
	s_bitcmp1_b32 s17, 0
	s_cselect_b64 s[0:1], -1, 0
	s_xor_b64 s[10:11], s[0:1], -1
	s_and_b64 vcc, exec, s[0:1]
	v_mov_b32_e32 v2, s8
	s_cbranch_vccnz .LBB19_2
; %bb.1:
	v_pk_mov_b32 v[2:3], s[8:9], s[8:9] op_sel:[0,1]
	flat_load_dword v2, v[2:3]
.LBB19_2:
	v_cndmask_b32_e64 v1, 0, 1, s[10:11]
	v_cmp_ne_u32_e64 s[0:1], 1, v1
	s_andn2_b64 vcc, exec, s[10:11]
	v_mov_b32_e32 v3, s9
	s_cbranch_vccz .LBB19_31
; %bb.3:
	s_and_b64 vcc, exec, s[0:1]
	v_mov_b32_e32 v4, s2
	s_cbranch_vccz .LBB19_32
.LBB19_4:
	s_and_b64 vcc, exec, s[0:1]
	v_mov_b32_e32 v5, s3
	s_cbranch_vccnz .LBB19_6
.LBB19_5:
	v_pk_mov_b32 v[6:7], s[2:3], s[2:3] op_sel:[0,1]
	flat_load_dword v5, v[6:7] offset:4
.LBB19_6:
	s_waitcnt vmcnt(0) lgkmcnt(0)
	v_and_b32_e32 v1, 0x7fffffff, v2
	v_cmp_eq_u32_e32 vcc, 0, v1
	v_cmp_eq_f32_e64 s[0:1], 0, v3
	s_and_b64 s[8:9], vcc, s[0:1]
	s_mov_b64 s[0:1], -1
	s_and_saveexec_b64 s[2:3], s[8:9]
; %bb.7:
	v_and_b32_e32 v1, 0x7fffffff, v5
	v_cmp_neq_f32_e32 vcc, 1.0, v4
	v_cmp_ne_u32_e64 s[0:1], 0, v1
	s_or_b64 s[0:1], vcc, s[0:1]
	s_orn2_b64 s[0:1], s[0:1], exec
; %bb.8:
	s_or_b64 exec, exec, s[2:3]
	s_and_saveexec_b64 s[2:3], s[0:1]
	s_cbranch_execz .LBB19_30
; %bb.9:
	s_load_dwordx2 s[0:1], s[4:5], 0x18
	s_waitcnt lgkmcnt(0)
	s_cmp_eq_u64 s[0:1], 0
	s_cbranch_scc1 .LBB19_11
; %bb.10:
	s_ashr_i32 s7, s6, 31
	s_lshl_b64 s[2:3], s[6:7], 2
	s_add_u32 s0, s0, s2
	s_addc_u32 s1, s1, s3
	s_load_dword s0, s[0:1], 0x0
	s_waitcnt lgkmcnt(0)
	s_sub_i32 s6, s0, s16
.LBB19_11:
	s_load_dword s17, s[4:5], 0x40
	v_lshrrev_b32_e32 v6, 4, v0
	s_waitcnt lgkmcnt(0)
	v_cmp_gt_i32_e32 vcc, s17, v6
	s_and_b64 exec, exec, vcc
	s_cbranch_execz .LBB19_30
; %bb.12:
	s_load_dwordx8 s[8:15], s[4:5], 0x20
	s_ashr_i32 s7, s6, 31
	s_lshl_b64 s[0:1], s[6:7], 3
	v_and_b32_e32 v1, 0x7fffffff, v4
	s_mul_hi_u32 s33, s17, s17
	s_waitcnt lgkmcnt(0)
	s_add_u32 s2, s8, s0
	s_addc_u32 s3, s9, s1
	s_load_dwordx2 s[30:31], s[2:3], 0x0
	s_load_dwordx2 s[8:9], s[4:5], 0x58
	;; [unrolled: 1-line block ×3, first 2 shown]
	s_mul_i32 s38, s17, s17
	s_load_dword s4, s[4:5], 0x0
	s_waitcnt lgkmcnt(0)
	s_sub_u32 s24, s30, s16
	s_subb_u32 s25, s31, 0
	s_add_u32 s2, s2, 8
	s_addc_u32 s3, s3, 0
	s_add_u32 s0, s10, s0
	s_addc_u32 s1, s11, s1
	s_cmp_eq_u64 s[10:11], 0
	s_cselect_b32 s1, s3, s1
	s_cselect_b32 s0, s2, s0
	s_load_dwordx2 s[2:3], s[0:1], 0x0
	v_cmp_eq_u32_e32 vcc, 0, v1
	v_and_b32_e32 v0, 15, v0
	s_mov_b32 s20, 0
	s_mov_b64 s[22:23], 0
	s_waitcnt lgkmcnt(0)
	s_sub_u32 s10, s2, s16
	s_subb_u32 s11, s3, 0
	v_pk_mov_b32 v[12:13], s[2:3], s[2:3] op_sel:[0,1]
	s_cmp_lg_u32 s4, 0
	v_cmp_eq_f32_e64 s[4:5], 0, v5
	s_cselect_b64 s[26:27], -1, 0
	s_and_b64 s[28:29], vcc, s[4:5]
	s_mul_i32 s4, s24, s33
	s_mul_hi_u32 s5, s24, s38
	v_cmp_lt_i64_e32 vcc, s[30:31], v[12:13]
	s_add_i32 s4, s5, s4
	s_mul_i32 s5, s25, s38
	v_cndmask_b32_e64 v7, 0, 1, vcc
	v_cmp_gt_u32_e64 s[0:1], s17, v0
	v_cmp_eq_u32_e64 s[2:3], 15, v0
	v_xor_b32_e32 v8, 0x80000000, v3
	s_mul_i32 s39, s6, s17
	v_xor_b32_e32 v10, 0x80000000, v5
	v_mov_b32_e32 v9, v2
	v_mov_b32_e32 v11, v4
	s_add_i32 s40, s4, s5
	s_mul_i32 s41, s24, s38
	v_mul_lo_u32 v22, s17, v6
	s_lshl_b32 s42, s17, 4
	v_mov_b32_e32 v1, 0
	v_mul_lo_u32 v23, s17, v0
	v_cmp_ne_u32_e64 s[4:5], 1, v7
	s_branch .LBB19_14
.LBB19_13:                              ;   in Loop: Header=BB19_14 Depth=1
	s_or_b64 exec, exec, s[6:7]
	v_add_u32_e32 v6, 16, v6
	v_cmp_le_i32_e32 vcc, s17, v6
	s_or_b64 s[22:23], vcc, s[22:23]
	v_add_u32_e32 v22, s42, v22
	s_andn2_b64 exec, exec, s[22:23]
	s_cbranch_execz .LBB19_30
.LBB19_14:                              ; =>This Loop Header: Depth=1
                                        ;     Child Loop BB19_18 Depth 2
                                        ;       Child Loop BB19_21 Depth 3
	s_mov_b32 s21, s20
	s_and_b64 vcc, exec, s[4:5]
	v_pk_mov_b32 v[12:13], s[20:21], s[20:21] op_sel:[0,1]
	s_cbranch_vccnz .LBB19_25
; %bb.15:                               ;   in Loop: Header=BB19_14 Depth=1
	v_ashrrev_i32_e32 v7, 31, v22
	v_mov_b32_e32 v12, s40
	v_add_co_u32_e32 v14, vcc, s41, v22
	v_addc_co_u32_e32 v15, vcc, v12, v7, vcc
	v_ashrrev_i32_e32 v7, 31, v6
	v_pk_mov_b32 v[12:13], s[20:21], s[20:21] op_sel:[0,1]
	s_mov_b64 s[6:7], s[24:25]
	s_branch .LBB19_18
.LBB19_16:                              ;   in Loop: Header=BB19_18 Depth=2
	s_or_b64 exec, exec, s[34:35]
.LBB19_17:                              ;   in Loop: Header=BB19_18 Depth=2
	s_or_b64 exec, exec, s[30:31]
	s_add_u32 s6, s6, 1
	v_mov_b32_e32 v16, s33
	v_add_co_u32_e32 v14, vcc, s38, v14
	s_addc_u32 s7, s7, 0
	v_addc_co_u32_e32 v15, vcc, v15, v16, vcc
	v_pk_mov_b32 v[16:17], s[10:11], s[10:11] op_sel:[0,1]
	v_cmp_ge_i64_e32 vcc, s[6:7], v[16:17]
	s_cbranch_vccnz .LBB19_25
.LBB19_18:                              ;   Parent Loop BB19_14 Depth=1
                                        ; =>  This Loop Header: Depth=2
                                        ;       Child Loop BB19_21 Depth 3
	s_and_saveexec_b64 s[30:31], s[0:1]
	s_cbranch_execz .LBB19_17
; %bb.19:                               ;   in Loop: Header=BB19_18 Depth=2
	s_lshl_b64 s[34:35], s[6:7], 2
	s_add_u32 s34, s12, s34
	s_addc_u32 s35, s13, s35
	s_load_dword s21, s[34:35], 0x0
	s_mul_i32 s34, s33, s6
	s_mul_i32 s35, s38, s7
	v_mov_b32_e32 v16, s6
	s_add_i32 s36, s35, s34
	s_waitcnt lgkmcnt(0)
	s_sub_i32 s21, s21, s16
	v_mad_u64_u32 v[16:17], s[34:35], s38, v16, v[6:7]
	v_add_u32_e32 v17, s36, v17
	s_mul_i32 s21, s21, s17
	s_mov_b64 s[34:35], 0
	v_mov_b32_e32 v24, v23
	v_pk_mov_b32 v[18:19], v[0:1], v[0:1] op_sel:[0,1]
	s_branch .LBB19_21
.LBB19_20:                              ;   in Loop: Header=BB19_21 Depth=3
	v_lshlrev_b64 v[20:21], 3, v[20:21]
	v_add_u32_e32 v26, s21, v18
	v_mov_b32_e32 v25, s15
	v_add_co_u32_e32 v20, vcc, s14, v20
	v_ashrrev_i32_e32 v27, 31, v26
	v_addc_co_u32_e32 v21, vcc, v25, v21, vcc
	v_lshlrev_b64 v[26:27], 3, v[26:27]
	v_mov_b32_e32 v25, s19
	v_add_co_u32_e32 v26, vcc, s18, v26
	v_addc_co_u32_e32 v27, vcc, v25, v27, vcc
	global_load_dwordx2 v[28:29], v[20:21], off
	global_load_dwordx2 v[30:31], v[26:27], off
	v_add_co_u32_e32 v18, vcc, 16, v18
	v_addc_co_u32_e32 v19, vcc, 0, v19, vcc
	v_cmp_le_i32_e32 vcc, s17, v18
	s_or_b64 s[34:35], vcc, s[34:35]
	v_add_u32_e32 v24, s42, v24
	s_waitcnt vmcnt(0)
	v_pk_fma_f32 v[12:13], v[28:29], v[30:31], v[12:13] op_sel_hi:[1,0,1]
	v_pk_fma_f32 v[12:13], v[28:29], v[30:31], v[12:13] op_sel:[1,1,0] op_sel_hi:[0,1,1] neg_lo:[1,0,0]
	s_andn2_b64 exec, exec, s[34:35]
	s_cbranch_execz .LBB19_16
.LBB19_21:                              ;   Parent Loop BB19_14 Depth=1
                                        ;     Parent Loop BB19_18 Depth=2
                                        ; =>    This Inner Loop Header: Depth=3
	s_and_b64 vcc, exec, s[26:27]
	s_cbranch_vccz .LBB19_23
; %bb.22:                               ;   in Loop: Header=BB19_21 Depth=3
	v_ashrrev_i32_e32 v21, 31, v24
	v_add_co_u32_e32 v20, vcc, v16, v24
	v_addc_co_u32_e32 v21, vcc, v17, v21, vcc
	s_cbranch_execnz .LBB19_20
	s_branch .LBB19_24
.LBB19_23:                              ;   in Loop: Header=BB19_21 Depth=3
                                        ; implicit-def: $vgpr20_vgpr21
.LBB19_24:                              ;   in Loop: Header=BB19_21 Depth=3
	v_add_co_u32_e32 v20, vcc, v14, v18
	v_addc_co_u32_e32 v21, vcc, v15, v19, vcc
	s_branch .LBB19_20
.LBB19_25:                              ;   in Loop: Header=BB19_14 Depth=1
	s_nop 0
	v_mov_b32_dpp v7, v12 row_shr:1 row_mask:0xf bank_mask:0xf
	v_mov_b32_dpp v14, v13 row_shr:1 row_mask:0xf bank_mask:0xf
	v_add_f32_e32 v7, v12, v7
	v_add_f32_e32 v13, v13, v14
	s_nop 0
	v_mov_b32_dpp v12, v7 row_shr:2 row_mask:0xf bank_mask:0xf
	v_mov_b32_dpp v14, v13 row_shr:2 row_mask:0xf bank_mask:0xf
	v_add_f32_e32 v7, v7, v12
	v_add_f32_e32 v13, v13, v14
	;; [unrolled: 5-line block ×3, first 2 shown]
	s_nop 0
	v_mov_b32_dpp v12, v7 row_shr:8 row_mask:0xf bank_mask:0xc
	v_mov_b32_dpp v14, v13 row_shr:8 row_mask:0xf bank_mask:0xc
	s_and_saveexec_b64 s[6:7], s[2:3]
	s_cbranch_execz .LBB19_13
; %bb.26:                               ;   in Loop: Header=BB19_14 Depth=1
	v_add_u32_e32 v16, s39, v6
	v_add_f32_e32 v12, v7, v12
	v_add_f32_e32 v14, v13, v14
	v_ashrrev_i32_e32 v17, 31, v16
	s_and_saveexec_b64 s[30:31], s[28:29]
	s_xor_b64 s[30:31], exec, s[30:31]
	s_cbranch_execz .LBB19_28
; %bb.27:                               ;   in Loop: Header=BB19_14 Depth=1
	v_lshlrev_b64 v[16:17], 3, v[16:17]
	v_mov_b32_e32 v7, s9
	v_add_co_u32_e32 v16, vcc, s8, v16
	v_pk_mul_f32 v[14:15], v[14:15], v[8:9] op_sel_hi:[0,1]
	v_addc_co_u32_e32 v17, vcc, v7, v17, vcc
	v_pk_fma_f32 v[12:13], v[2:3], v[12:13], v[14:15] op_sel_hi:[1,0,1]
	global_store_dwordx2 v[16:17], v[12:13], off
                                        ; implicit-def: $vgpr16
                                        ; implicit-def: $vgpr14
                                        ; implicit-def: $vgpr12
.LBB19_28:                              ;   in Loop: Header=BB19_14 Depth=1
	s_andn2_saveexec_b64 s[30:31], s[30:31]
	s_cbranch_execz .LBB19_13
; %bb.29:                               ;   in Loop: Header=BB19_14 Depth=1
	v_lshlrev_b64 v[16:17], 3, v[16:17]
	v_mov_b32_e32 v7, s9
	v_add_co_u32_e32 v16, vcc, s8, v16
	v_addc_co_u32_e32 v17, vcc, v7, v17, vcc
	global_load_dwordx2 v[18:19], v[16:17], off
	v_pk_mul_f32 v[14:15], v[14:15], v[8:9] op_sel_hi:[0,1]
	v_pk_fma_f32 v[12:13], v[2:3], v[12:13], v[14:15] op_sel_hi:[1,0,1]
	s_waitcnt vmcnt(0)
	v_pk_fma_f32 v[12:13], v[4:5], v[18:19], v[12:13] op_sel_hi:[1,0,1]
	v_pk_fma_f32 v[12:13], v[10:11], v[18:19], v[12:13] op_sel:[0,1,0]
	global_store_dwordx2 v[16:17], v[12:13], off
	s_branch .LBB19_13
.LBB19_30:
	s_endpgm
.LBB19_31:
	v_pk_mov_b32 v[4:5], s[8:9], s[8:9] op_sel:[0,1]
	flat_load_dword v3, v[4:5] offset:4
	s_and_b64 vcc, exec, s[0:1]
	v_mov_b32_e32 v4, s2
	s_cbranch_vccnz .LBB19_4
.LBB19_32:
	v_pk_mov_b32 v[4:5], s[2:3], s[2:3] op_sel:[0,1]
	flat_load_dword v4, v[4:5]
	s_and_b64 vcc, exec, s[0:1]
	v_mov_b32_e32 v5, s3
	s_cbranch_vccz .LBB19_5
	s_branch .LBB19_6
	.section	.rodata,"a",@progbits
	.p2align	6, 0x0
	.amdhsa_kernel _ZN9rocsparseL22bsrxmvn_general_kernelILj256ELj16E21rocsparse_complex_numIfEliS2_S2_S2_EEv20rocsparse_direction_NS_24const_host_device_scalarIT1_EET3_PKS7_PKT2_SC_S9_PKT4_S7_PKT5_S6_PT6_21rocsparse_index_base_b
		.amdhsa_group_segment_fixed_size 0
		.amdhsa_private_segment_fixed_size 0
		.amdhsa_kernarg_size 104
		.amdhsa_user_sgpr_count 6
		.amdhsa_user_sgpr_private_segment_buffer 1
		.amdhsa_user_sgpr_dispatch_ptr 0
		.amdhsa_user_sgpr_queue_ptr 0
		.amdhsa_user_sgpr_kernarg_segment_ptr 1
		.amdhsa_user_sgpr_dispatch_id 0
		.amdhsa_user_sgpr_flat_scratch_init 0
		.amdhsa_user_sgpr_kernarg_preload_length 0
		.amdhsa_user_sgpr_kernarg_preload_offset 0
		.amdhsa_user_sgpr_private_segment_size 0
		.amdhsa_uses_dynamic_stack 0
		.amdhsa_system_sgpr_private_segment_wavefront_offset 0
		.amdhsa_system_sgpr_workgroup_id_x 1
		.amdhsa_system_sgpr_workgroup_id_y 0
		.amdhsa_system_sgpr_workgroup_id_z 0
		.amdhsa_system_sgpr_workgroup_info 0
		.amdhsa_system_vgpr_workitem_id 0
		.amdhsa_next_free_vgpr 32
		.amdhsa_next_free_sgpr 43
		.amdhsa_accum_offset 32
		.amdhsa_reserve_vcc 1
		.amdhsa_reserve_flat_scratch 0
		.amdhsa_float_round_mode_32 0
		.amdhsa_float_round_mode_16_64 0
		.amdhsa_float_denorm_mode_32 3
		.amdhsa_float_denorm_mode_16_64 3
		.amdhsa_dx10_clamp 1
		.amdhsa_ieee_mode 1
		.amdhsa_fp16_overflow 0
		.amdhsa_tg_split 0
		.amdhsa_exception_fp_ieee_invalid_op 0
		.amdhsa_exception_fp_denorm_src 0
		.amdhsa_exception_fp_ieee_div_zero 0
		.amdhsa_exception_fp_ieee_overflow 0
		.amdhsa_exception_fp_ieee_underflow 0
		.amdhsa_exception_fp_ieee_inexact 0
		.amdhsa_exception_int_div_zero 0
	.end_amdhsa_kernel
	.section	.text._ZN9rocsparseL22bsrxmvn_general_kernelILj256ELj16E21rocsparse_complex_numIfEliS2_S2_S2_EEv20rocsparse_direction_NS_24const_host_device_scalarIT1_EET3_PKS7_PKT2_SC_S9_PKT4_S7_PKT5_S6_PT6_21rocsparse_index_base_b,"axG",@progbits,_ZN9rocsparseL22bsrxmvn_general_kernelILj256ELj16E21rocsparse_complex_numIfEliS2_S2_S2_EEv20rocsparse_direction_NS_24const_host_device_scalarIT1_EET3_PKS7_PKT2_SC_S9_PKT4_S7_PKT5_S6_PT6_21rocsparse_index_base_b,comdat
.Lfunc_end19:
	.size	_ZN9rocsparseL22bsrxmvn_general_kernelILj256ELj16E21rocsparse_complex_numIfEliS2_S2_S2_EEv20rocsparse_direction_NS_24const_host_device_scalarIT1_EET3_PKS7_PKT2_SC_S9_PKT4_S7_PKT5_S6_PT6_21rocsparse_index_base_b, .Lfunc_end19-_ZN9rocsparseL22bsrxmvn_general_kernelILj256ELj16E21rocsparse_complex_numIfEliS2_S2_S2_EEv20rocsparse_direction_NS_24const_host_device_scalarIT1_EET3_PKS7_PKT2_SC_S9_PKT4_S7_PKT5_S6_PT6_21rocsparse_index_base_b
                                        ; -- End function
	.section	.AMDGPU.csdata,"",@progbits
; Kernel info:
; codeLenInByte = 1288
; NumSgprs: 47
; NumVgprs: 32
; NumAgprs: 0
; TotalNumVgprs: 32
; ScratchSize: 0
; MemoryBound: 0
; FloatMode: 240
; IeeeMode: 1
; LDSByteSize: 0 bytes/workgroup (compile time only)
; SGPRBlocks: 5
; VGPRBlocks: 3
; NumSGPRsForWavesPerEU: 47
; NumVGPRsForWavesPerEU: 32
; AccumOffset: 32
; Occupancy: 8
; WaveLimiterHint : 1
; COMPUTE_PGM_RSRC2:SCRATCH_EN: 0
; COMPUTE_PGM_RSRC2:USER_SGPR: 6
; COMPUTE_PGM_RSRC2:TRAP_HANDLER: 0
; COMPUTE_PGM_RSRC2:TGID_X_EN: 1
; COMPUTE_PGM_RSRC2:TGID_Y_EN: 0
; COMPUTE_PGM_RSRC2:TGID_Z_EN: 0
; COMPUTE_PGM_RSRC2:TIDIG_COMP_CNT: 0
; COMPUTE_PGM_RSRC3_GFX90A:ACCUM_OFFSET: 7
; COMPUTE_PGM_RSRC3_GFX90A:TG_SPLIT: 0
	.section	.text._ZN9rocsparseL22bsrxmvn_general_kernelILj1024ELj32E21rocsparse_complex_numIfEliS2_S2_S2_EEv20rocsparse_direction_NS_24const_host_device_scalarIT1_EET3_PKS7_PKT2_SC_S9_PKT4_S7_PKT5_S6_PT6_21rocsparse_index_base_b,"axG",@progbits,_ZN9rocsparseL22bsrxmvn_general_kernelILj1024ELj32E21rocsparse_complex_numIfEliS2_S2_S2_EEv20rocsparse_direction_NS_24const_host_device_scalarIT1_EET3_PKS7_PKT2_SC_S9_PKT4_S7_PKT5_S6_PT6_21rocsparse_index_base_b,comdat
	.globl	_ZN9rocsparseL22bsrxmvn_general_kernelILj1024ELj32E21rocsparse_complex_numIfEliS2_S2_S2_EEv20rocsparse_direction_NS_24const_host_device_scalarIT1_EET3_PKS7_PKT2_SC_S9_PKT4_S7_PKT5_S6_PT6_21rocsparse_index_base_b ; -- Begin function _ZN9rocsparseL22bsrxmvn_general_kernelILj1024ELj32E21rocsparse_complex_numIfEliS2_S2_S2_EEv20rocsparse_direction_NS_24const_host_device_scalarIT1_EET3_PKS7_PKT2_SC_S9_PKT4_S7_PKT5_S6_PT6_21rocsparse_index_base_b
	.p2align	8
	.type	_ZN9rocsparseL22bsrxmvn_general_kernelILj1024ELj32E21rocsparse_complex_numIfEliS2_S2_S2_EEv20rocsparse_direction_NS_24const_host_device_scalarIT1_EET3_PKS7_PKT2_SC_S9_PKT4_S7_PKT5_S6_PT6_21rocsparse_index_base_b,@function
_ZN9rocsparseL22bsrxmvn_general_kernelILj1024ELj32E21rocsparse_complex_numIfEliS2_S2_S2_EEv20rocsparse_direction_NS_24const_host_device_scalarIT1_EET3_PKS7_PKT2_SC_S9_PKT4_S7_PKT5_S6_PT6_21rocsparse_index_base_b: ; @_ZN9rocsparseL22bsrxmvn_general_kernelILj1024ELj32E21rocsparse_complex_numIfEliS2_S2_S2_EEv20rocsparse_direction_NS_24const_host_device_scalarIT1_EET3_PKS7_PKT2_SC_S9_PKT4_S7_PKT5_S6_PT6_21rocsparse_index_base_b
; %bb.0:
	s_load_dwordx2 s[16:17], s[4:5], 0x60
	s_load_dwordx2 s[8:9], s[4:5], 0x8
	;; [unrolled: 1-line block ×3, first 2 shown]
	s_waitcnt lgkmcnt(0)
	s_bitcmp1_b32 s17, 0
	s_cselect_b64 s[0:1], -1, 0
	s_xor_b64 s[10:11], s[0:1], -1
	s_and_b64 vcc, exec, s[0:1]
	v_mov_b32_e32 v2, s8
	s_cbranch_vccnz .LBB20_2
; %bb.1:
	v_pk_mov_b32 v[2:3], s[8:9], s[8:9] op_sel:[0,1]
	flat_load_dword v2, v[2:3]
.LBB20_2:
	v_cndmask_b32_e64 v1, 0, 1, s[10:11]
	v_cmp_ne_u32_e64 s[0:1], 1, v1
	s_andn2_b64 vcc, exec, s[10:11]
	v_mov_b32_e32 v3, s9
	s_cbranch_vccz .LBB20_31
; %bb.3:
	s_and_b64 vcc, exec, s[0:1]
	v_mov_b32_e32 v4, s2
	s_cbranch_vccz .LBB20_32
.LBB20_4:
	s_and_b64 vcc, exec, s[0:1]
	v_mov_b32_e32 v5, s3
	s_cbranch_vccnz .LBB20_6
.LBB20_5:
	v_pk_mov_b32 v[6:7], s[2:3], s[2:3] op_sel:[0,1]
	flat_load_dword v5, v[6:7] offset:4
.LBB20_6:
	s_waitcnt vmcnt(0) lgkmcnt(0)
	v_and_b32_e32 v1, 0x7fffffff, v2
	v_cmp_eq_u32_e32 vcc, 0, v1
	v_cmp_eq_f32_e64 s[0:1], 0, v3
	s_and_b64 s[8:9], vcc, s[0:1]
	s_mov_b64 s[0:1], -1
	s_and_saveexec_b64 s[2:3], s[8:9]
; %bb.7:
	v_and_b32_e32 v1, 0x7fffffff, v5
	v_cmp_neq_f32_e32 vcc, 1.0, v4
	v_cmp_ne_u32_e64 s[0:1], 0, v1
	s_or_b64 s[0:1], vcc, s[0:1]
	s_orn2_b64 s[0:1], s[0:1], exec
; %bb.8:
	s_or_b64 exec, exec, s[2:3]
	s_and_saveexec_b64 s[2:3], s[0:1]
	s_cbranch_execz .LBB20_30
; %bb.9:
	s_load_dwordx2 s[0:1], s[4:5], 0x18
	s_waitcnt lgkmcnt(0)
	s_cmp_eq_u64 s[0:1], 0
	s_cbranch_scc1 .LBB20_11
; %bb.10:
	s_ashr_i32 s7, s6, 31
	s_lshl_b64 s[2:3], s[6:7], 2
	s_add_u32 s0, s0, s2
	s_addc_u32 s1, s1, s3
	s_load_dword s0, s[0:1], 0x0
	s_waitcnt lgkmcnt(0)
	s_sub_i32 s6, s0, s16
.LBB20_11:
	s_load_dword s17, s[4:5], 0x40
	v_lshrrev_b32_e32 v6, 5, v0
	s_waitcnt lgkmcnt(0)
	v_cmp_gt_i32_e32 vcc, s17, v6
	s_and_b64 exec, exec, vcc
	s_cbranch_execz .LBB20_30
; %bb.12:
	s_load_dwordx8 s[8:15], s[4:5], 0x20
	s_ashr_i32 s7, s6, 31
	s_lshl_b64 s[0:1], s[6:7], 3
	v_and_b32_e32 v1, 0x7fffffff, v4
	s_mul_hi_u32 s33, s17, s17
	s_waitcnt lgkmcnt(0)
	s_add_u32 s2, s8, s0
	s_addc_u32 s3, s9, s1
	s_load_dwordx2 s[30:31], s[2:3], 0x0
	s_load_dwordx2 s[8:9], s[4:5], 0x58
	;; [unrolled: 1-line block ×3, first 2 shown]
	s_mul_i32 s38, s17, s17
	s_load_dword s4, s[4:5], 0x0
	s_waitcnt lgkmcnt(0)
	s_sub_u32 s24, s30, s16
	s_subb_u32 s25, s31, 0
	s_add_u32 s2, s2, 8
	s_addc_u32 s3, s3, 0
	s_add_u32 s0, s10, s0
	s_addc_u32 s1, s11, s1
	s_cmp_eq_u64 s[10:11], 0
	s_cselect_b32 s1, s3, s1
	s_cselect_b32 s0, s2, s0
	s_load_dwordx2 s[2:3], s[0:1], 0x0
	v_cmp_eq_u32_e32 vcc, 0, v1
	v_and_b32_e32 v0, 31, v0
	v_mov_b32_e32 v7, 0
	s_mov_b32 s20, 0
	s_waitcnt lgkmcnt(0)
	s_sub_u32 s10, s2, s16
	s_subb_u32 s11, s3, 0
	v_pk_mov_b32 v[12:13], s[2:3], s[2:3] op_sel:[0,1]
	s_cmp_lg_u32 s4, 0
	v_cmp_eq_f32_e64 s[4:5], 0, v5
	s_cselect_b64 s[26:27], -1, 0
	s_and_b64 s[28:29], vcc, s[4:5]
	s_mul_i32 s4, s24, s33
	s_mul_hi_u32 s5, s24, s38
	v_cmp_lt_i64_e32 vcc, s[30:31], v[12:13]
	s_add_i32 s4, s5, s4
	s_mul_i32 s5, s25, s38
	v_cndmask_b32_e64 v12, 0, 1, vcc
	s_mov_b64 s[22:23], 0
	v_cmp_gt_u32_e64 s[0:1], s17, v0
	v_cmp_eq_u32_e64 s[2:3], 31, v0
	v_xor_b32_e32 v8, 0x80000000, v3
	s_mul_i32 s39, s6, s17
	v_xor_b32_e32 v10, 0x80000000, v5
	v_mov_b32_e32 v9, v2
	v_mov_b32_e32 v11, v4
	s_add_i32 s40, s4, s5
	s_mul_i32 s41, s24, s38
	v_mul_lo_u32 v22, s17, v6
	s_lshl_b32 s42, s17, 5
	v_mov_b32_e32 v1, v7
	v_mul_lo_u32 v23, s17, v0
	v_cmp_ne_u32_e64 s[4:5], 1, v12
	s_branch .LBB20_14
.LBB20_13:                              ;   in Loop: Header=BB20_14 Depth=1
	s_or_b64 exec, exec, s[6:7]
	v_add_u32_e32 v6, 32, v6
	v_cmp_le_i32_e32 vcc, s17, v6
	s_or_b64 s[22:23], vcc, s[22:23]
	v_add_u32_e32 v22, s42, v22
	s_andn2_b64 exec, exec, s[22:23]
	s_cbranch_execz .LBB20_30
.LBB20_14:                              ; =>This Loop Header: Depth=1
                                        ;     Child Loop BB20_18 Depth 2
                                        ;       Child Loop BB20_21 Depth 3
	s_mov_b32 s21, s20
	s_and_b64 vcc, exec, s[4:5]
	v_pk_mov_b32 v[12:13], s[20:21], s[20:21] op_sel:[0,1]
	s_cbranch_vccnz .LBB20_25
; %bb.15:                               ;   in Loop: Header=BB20_14 Depth=1
	v_ashrrev_i32_e32 v12, 31, v22
	v_mov_b32_e32 v13, s40
	v_add_co_u32_e32 v14, vcc, s41, v22
	v_addc_co_u32_e32 v15, vcc, v13, v12, vcc
	v_pk_mov_b32 v[12:13], s[20:21], s[20:21] op_sel:[0,1]
	s_mov_b64 s[6:7], s[24:25]
	s_branch .LBB20_18
.LBB20_16:                              ;   in Loop: Header=BB20_18 Depth=2
	s_or_b64 exec, exec, s[34:35]
.LBB20_17:                              ;   in Loop: Header=BB20_18 Depth=2
	s_or_b64 exec, exec, s[30:31]
	s_add_u32 s6, s6, 1
	v_mov_b32_e32 v16, s33
	v_add_co_u32_e32 v14, vcc, s38, v14
	s_addc_u32 s7, s7, 0
	v_addc_co_u32_e32 v15, vcc, v15, v16, vcc
	v_pk_mov_b32 v[16:17], s[10:11], s[10:11] op_sel:[0,1]
	v_cmp_ge_i64_e32 vcc, s[6:7], v[16:17]
	s_cbranch_vccnz .LBB20_25
.LBB20_18:                              ;   Parent Loop BB20_14 Depth=1
                                        ; =>  This Loop Header: Depth=2
                                        ;       Child Loop BB20_21 Depth 3
	s_and_saveexec_b64 s[30:31], s[0:1]
	s_cbranch_execz .LBB20_17
; %bb.19:                               ;   in Loop: Header=BB20_18 Depth=2
	s_lshl_b64 s[34:35], s[6:7], 2
	s_add_u32 s34, s12, s34
	s_addc_u32 s35, s13, s35
	s_load_dword s21, s[34:35], 0x0
	s_mul_i32 s34, s33, s6
	s_mul_i32 s35, s38, s7
	v_mov_b32_e32 v16, s6
	s_add_i32 s36, s35, s34
	s_waitcnt lgkmcnt(0)
	s_sub_i32 s21, s21, s16
	v_mad_u64_u32 v[16:17], s[34:35], s38, v16, v[6:7]
	v_add_u32_e32 v17, s36, v17
	s_mul_i32 s21, s21, s17
	s_mov_b64 s[34:35], 0
	v_mov_b32_e32 v24, v23
	v_pk_mov_b32 v[18:19], v[0:1], v[0:1] op_sel:[0,1]
	s_branch .LBB20_21
.LBB20_20:                              ;   in Loop: Header=BB20_21 Depth=3
	v_lshlrev_b64 v[20:21], 3, v[20:21]
	v_add_u32_e32 v26, s21, v18
	v_mov_b32_e32 v25, s15
	v_add_co_u32_e32 v20, vcc, s14, v20
	v_ashrrev_i32_e32 v27, 31, v26
	v_addc_co_u32_e32 v21, vcc, v25, v21, vcc
	v_lshlrev_b64 v[26:27], 3, v[26:27]
	v_mov_b32_e32 v25, s19
	v_add_co_u32_e32 v26, vcc, s18, v26
	v_addc_co_u32_e32 v27, vcc, v25, v27, vcc
	global_load_dwordx2 v[28:29], v[20:21], off
	global_load_dwordx2 v[30:31], v[26:27], off
	v_add_co_u32_e32 v18, vcc, 32, v18
	v_addc_co_u32_e32 v19, vcc, 0, v19, vcc
	v_cmp_le_i32_e32 vcc, s17, v18
	s_or_b64 s[34:35], vcc, s[34:35]
	v_add_u32_e32 v24, s42, v24
	s_waitcnt vmcnt(0)
	v_pk_fma_f32 v[12:13], v[28:29], v[30:31], v[12:13] op_sel_hi:[1,0,1]
	v_pk_fma_f32 v[12:13], v[28:29], v[30:31], v[12:13] op_sel:[1,1,0] op_sel_hi:[0,1,1] neg_lo:[1,0,0]
	s_andn2_b64 exec, exec, s[34:35]
	s_cbranch_execz .LBB20_16
.LBB20_21:                              ;   Parent Loop BB20_14 Depth=1
                                        ;     Parent Loop BB20_18 Depth=2
                                        ; =>    This Inner Loop Header: Depth=3
	s_and_b64 vcc, exec, s[26:27]
	s_cbranch_vccz .LBB20_23
; %bb.22:                               ;   in Loop: Header=BB20_21 Depth=3
	v_ashrrev_i32_e32 v21, 31, v24
	v_add_co_u32_e32 v20, vcc, v16, v24
	v_addc_co_u32_e32 v21, vcc, v17, v21, vcc
	s_cbranch_execnz .LBB20_20
	s_branch .LBB20_24
.LBB20_23:                              ;   in Loop: Header=BB20_21 Depth=3
                                        ; implicit-def: $vgpr20_vgpr21
.LBB20_24:                              ;   in Loop: Header=BB20_21 Depth=3
	v_add_co_u32_e32 v20, vcc, v14, v18
	v_addc_co_u32_e32 v21, vcc, v15, v19, vcc
	s_branch .LBB20_20
.LBB20_25:                              ;   in Loop: Header=BB20_14 Depth=1
	s_nop 0
	v_mov_b32_dpp v14, v12 row_shr:1 row_mask:0xf bank_mask:0xf
	v_mov_b32_dpp v15, v13 row_shr:1 row_mask:0xf bank_mask:0xf
	v_add_f32_e32 v12, v12, v14
	v_add_f32_e32 v13, v13, v15
	s_nop 0
	v_mov_b32_dpp v14, v12 row_shr:2 row_mask:0xf bank_mask:0xf
	v_mov_b32_dpp v15, v13 row_shr:2 row_mask:0xf bank_mask:0xf
	v_add_f32_e32 v12, v12, v14
	v_add_f32_e32 v13, v13, v15
	;; [unrolled: 5-line block ×4, first 2 shown]
	s_nop 0
	v_mov_b32_dpp v14, v12 row_bcast:15 row_mask:0xa bank_mask:0xf
	v_mov_b32_dpp v15, v13 row_bcast:15 row_mask:0xa bank_mask:0xf
	s_and_saveexec_b64 s[6:7], s[2:3]
	s_cbranch_execz .LBB20_13
; %bb.26:                               ;   in Loop: Header=BB20_14 Depth=1
	v_add_u32_e32 v16, s39, v6
	v_add_f32_e32 v12, v12, v14
	v_add_f32_e32 v14, v13, v15
	v_ashrrev_i32_e32 v17, 31, v16
	s_and_saveexec_b64 s[30:31], s[28:29]
	s_xor_b64 s[30:31], exec, s[30:31]
	s_cbranch_execz .LBB20_28
; %bb.27:                               ;   in Loop: Header=BB20_14 Depth=1
	v_lshlrev_b64 v[16:17], 3, v[16:17]
	v_mov_b32_e32 v13, s9
	v_add_co_u32_e32 v16, vcc, s8, v16
	v_pk_mul_f32 v[14:15], v[14:15], v[8:9] op_sel_hi:[0,1]
	v_addc_co_u32_e32 v17, vcc, v13, v17, vcc
	v_pk_fma_f32 v[12:13], v[2:3], v[12:13], v[14:15] op_sel_hi:[1,0,1]
	global_store_dwordx2 v[16:17], v[12:13], off
                                        ; implicit-def: $vgpr16
                                        ; implicit-def: $vgpr14
                                        ; implicit-def: $vgpr12
.LBB20_28:                              ;   in Loop: Header=BB20_14 Depth=1
	s_andn2_saveexec_b64 s[30:31], s[30:31]
	s_cbranch_execz .LBB20_13
; %bb.29:                               ;   in Loop: Header=BB20_14 Depth=1
	v_lshlrev_b64 v[16:17], 3, v[16:17]
	v_mov_b32_e32 v13, s9
	v_add_co_u32_e32 v16, vcc, s8, v16
	v_addc_co_u32_e32 v17, vcc, v13, v17, vcc
	global_load_dwordx2 v[18:19], v[16:17], off
	v_pk_mul_f32 v[14:15], v[14:15], v[8:9] op_sel_hi:[0,1]
	v_pk_fma_f32 v[12:13], v[2:3], v[12:13], v[14:15] op_sel_hi:[1,0,1]
	s_waitcnt vmcnt(0)
	v_pk_fma_f32 v[12:13], v[4:5], v[18:19], v[12:13] op_sel_hi:[1,0,1]
	v_pk_fma_f32 v[12:13], v[10:11], v[18:19], v[12:13] op_sel:[0,1,0]
	global_store_dwordx2 v[16:17], v[12:13], off
	s_branch .LBB20_13
.LBB20_30:
	s_endpgm
.LBB20_31:
	v_pk_mov_b32 v[4:5], s[8:9], s[8:9] op_sel:[0,1]
	flat_load_dword v3, v[4:5] offset:4
	s_and_b64 vcc, exec, s[0:1]
	v_mov_b32_e32 v4, s2
	s_cbranch_vccnz .LBB20_4
.LBB20_32:
	v_pk_mov_b32 v[4:5], s[2:3], s[2:3] op_sel:[0,1]
	flat_load_dword v4, v[4:5]
	s_and_b64 vcc, exec, s[0:1]
	v_mov_b32_e32 v5, s3
	s_cbranch_vccz .LBB20_5
	s_branch .LBB20_6
	.section	.rodata,"a",@progbits
	.p2align	6, 0x0
	.amdhsa_kernel _ZN9rocsparseL22bsrxmvn_general_kernelILj1024ELj32E21rocsparse_complex_numIfEliS2_S2_S2_EEv20rocsparse_direction_NS_24const_host_device_scalarIT1_EET3_PKS7_PKT2_SC_S9_PKT4_S7_PKT5_S6_PT6_21rocsparse_index_base_b
		.amdhsa_group_segment_fixed_size 0
		.amdhsa_private_segment_fixed_size 0
		.amdhsa_kernarg_size 104
		.amdhsa_user_sgpr_count 6
		.amdhsa_user_sgpr_private_segment_buffer 1
		.amdhsa_user_sgpr_dispatch_ptr 0
		.amdhsa_user_sgpr_queue_ptr 0
		.amdhsa_user_sgpr_kernarg_segment_ptr 1
		.amdhsa_user_sgpr_dispatch_id 0
		.amdhsa_user_sgpr_flat_scratch_init 0
		.amdhsa_user_sgpr_kernarg_preload_length 0
		.amdhsa_user_sgpr_kernarg_preload_offset 0
		.amdhsa_user_sgpr_private_segment_size 0
		.amdhsa_uses_dynamic_stack 0
		.amdhsa_system_sgpr_private_segment_wavefront_offset 0
		.amdhsa_system_sgpr_workgroup_id_x 1
		.amdhsa_system_sgpr_workgroup_id_y 0
		.amdhsa_system_sgpr_workgroup_id_z 0
		.amdhsa_system_sgpr_workgroup_info 0
		.amdhsa_system_vgpr_workitem_id 0
		.amdhsa_next_free_vgpr 32
		.amdhsa_next_free_sgpr 43
		.amdhsa_accum_offset 32
		.amdhsa_reserve_vcc 1
		.amdhsa_reserve_flat_scratch 0
		.amdhsa_float_round_mode_32 0
		.amdhsa_float_round_mode_16_64 0
		.amdhsa_float_denorm_mode_32 3
		.amdhsa_float_denorm_mode_16_64 3
		.amdhsa_dx10_clamp 1
		.amdhsa_ieee_mode 1
		.amdhsa_fp16_overflow 0
		.amdhsa_tg_split 0
		.amdhsa_exception_fp_ieee_invalid_op 0
		.amdhsa_exception_fp_denorm_src 0
		.amdhsa_exception_fp_ieee_div_zero 0
		.amdhsa_exception_fp_ieee_overflow 0
		.amdhsa_exception_fp_ieee_underflow 0
		.amdhsa_exception_fp_ieee_inexact 0
		.amdhsa_exception_int_div_zero 0
	.end_amdhsa_kernel
	.section	.text._ZN9rocsparseL22bsrxmvn_general_kernelILj1024ELj32E21rocsparse_complex_numIfEliS2_S2_S2_EEv20rocsparse_direction_NS_24const_host_device_scalarIT1_EET3_PKS7_PKT2_SC_S9_PKT4_S7_PKT5_S6_PT6_21rocsparse_index_base_b,"axG",@progbits,_ZN9rocsparseL22bsrxmvn_general_kernelILj1024ELj32E21rocsparse_complex_numIfEliS2_S2_S2_EEv20rocsparse_direction_NS_24const_host_device_scalarIT1_EET3_PKS7_PKT2_SC_S9_PKT4_S7_PKT5_S6_PT6_21rocsparse_index_base_b,comdat
.Lfunc_end20:
	.size	_ZN9rocsparseL22bsrxmvn_general_kernelILj1024ELj32E21rocsparse_complex_numIfEliS2_S2_S2_EEv20rocsparse_direction_NS_24const_host_device_scalarIT1_EET3_PKS7_PKT2_SC_S9_PKT4_S7_PKT5_S6_PT6_21rocsparse_index_base_b, .Lfunc_end20-_ZN9rocsparseL22bsrxmvn_general_kernelILj1024ELj32E21rocsparse_complex_numIfEliS2_S2_S2_EEv20rocsparse_direction_NS_24const_host_device_scalarIT1_EET3_PKS7_PKT2_SC_S9_PKT4_S7_PKT5_S6_PT6_21rocsparse_index_base_b
                                        ; -- End function
	.section	.AMDGPU.csdata,"",@progbits
; Kernel info:
; codeLenInByte = 1316
; NumSgprs: 47
; NumVgprs: 32
; NumAgprs: 0
; TotalNumVgprs: 32
; ScratchSize: 0
; MemoryBound: 0
; FloatMode: 240
; IeeeMode: 1
; LDSByteSize: 0 bytes/workgroup (compile time only)
; SGPRBlocks: 5
; VGPRBlocks: 3
; NumSGPRsForWavesPerEU: 47
; NumVGPRsForWavesPerEU: 32
; AccumOffset: 32
; Occupancy: 8
; WaveLimiterHint : 1
; COMPUTE_PGM_RSRC2:SCRATCH_EN: 0
; COMPUTE_PGM_RSRC2:USER_SGPR: 6
; COMPUTE_PGM_RSRC2:TRAP_HANDLER: 0
; COMPUTE_PGM_RSRC2:TGID_X_EN: 1
; COMPUTE_PGM_RSRC2:TGID_Y_EN: 0
; COMPUTE_PGM_RSRC2:TGID_Z_EN: 0
; COMPUTE_PGM_RSRC2:TIDIG_COMP_CNT: 0
; COMPUTE_PGM_RSRC3_GFX90A:ACCUM_OFFSET: 7
; COMPUTE_PGM_RSRC3_GFX90A:TG_SPLIT: 0
	.section	.text._ZN9rocsparseL22bsrxmvn_general_kernelILj64ELj8E21rocsparse_complex_numIdEliS2_S2_S2_EEv20rocsparse_direction_NS_24const_host_device_scalarIT1_EET3_PKS7_PKT2_SC_S9_PKT4_S7_PKT5_S6_PT6_21rocsparse_index_base_b,"axG",@progbits,_ZN9rocsparseL22bsrxmvn_general_kernelILj64ELj8E21rocsparse_complex_numIdEliS2_S2_S2_EEv20rocsparse_direction_NS_24const_host_device_scalarIT1_EET3_PKS7_PKT2_SC_S9_PKT4_S7_PKT5_S6_PT6_21rocsparse_index_base_b,comdat
	.globl	_ZN9rocsparseL22bsrxmvn_general_kernelILj64ELj8E21rocsparse_complex_numIdEliS2_S2_S2_EEv20rocsparse_direction_NS_24const_host_device_scalarIT1_EET3_PKS7_PKT2_SC_S9_PKT4_S7_PKT5_S6_PT6_21rocsparse_index_base_b ; -- Begin function _ZN9rocsparseL22bsrxmvn_general_kernelILj64ELj8E21rocsparse_complex_numIdEliS2_S2_S2_EEv20rocsparse_direction_NS_24const_host_device_scalarIT1_EET3_PKS7_PKT2_SC_S9_PKT4_S7_PKT5_S6_PT6_21rocsparse_index_base_b
	.p2align	8
	.type	_ZN9rocsparseL22bsrxmvn_general_kernelILj64ELj8E21rocsparse_complex_numIdEliS2_S2_S2_EEv20rocsparse_direction_NS_24const_host_device_scalarIT1_EET3_PKS7_PKT2_SC_S9_PKT4_S7_PKT5_S6_PT6_21rocsparse_index_base_b,@function
_ZN9rocsparseL22bsrxmvn_general_kernelILj64ELj8E21rocsparse_complex_numIdEliS2_S2_S2_EEv20rocsparse_direction_NS_24const_host_device_scalarIT1_EET3_PKS7_PKT2_SC_S9_PKT4_S7_PKT5_S6_PT6_21rocsparse_index_base_b: ; @_ZN9rocsparseL22bsrxmvn_general_kernelILj64ELj8E21rocsparse_complex_numIdEliS2_S2_S2_EEv20rocsparse_direction_NS_24const_host_device_scalarIT1_EET3_PKS7_PKT2_SC_S9_PKT4_S7_PKT5_S6_PT6_21rocsparse_index_base_b
; %bb.0:
	s_load_dwordx2 s[10:11], s[6:7], 0x70
	s_load_dwordx4 s[12:15], s[6:7], 0x8
	s_load_dwordx2 s[20:21], s[4:5], 0x4
	s_load_dwordx4 s[16:19], s[6:7], 0x58
	s_mov_b64 s[2:3], src_shared_base
	v_bfe_u32 v2, v0, 10, 10
	s_waitcnt lgkmcnt(0)
	s_bitcmp1_b32 s11, 0
	s_cselect_b64 s[0:1], -1, 0
	s_and_b64 vcc, s[0:1], exec
	s_cselect_b32 s2, s3, s13
	s_lshr_b32 s4, s20, 16
	v_and_b32_e32 v1, 0x3ff, v0
	s_mul_i32 s4, s4, s21
	v_mul_u32_u24_e32 v2, s21, v2
	v_mad_u32_u24 v2, s4, v1, v2
	v_bfe_u32 v0, v0, 20, 10
	v_add_lshl_u32 v0, v2, v0, 3
	v_mov_b32_e32 v6, s12
	v_add_u32_e32 v7, 0x200, v0
	v_pk_mov_b32 v[2:3], s[12:13], s[12:13] op_sel:[0,1]
	v_pk_mov_b32 v[4:5], s[16:17], s[16:17] op_sel:[0,1]
	ds_write2st64_b64 v0, v[4:5], v[2:3] offset1:1
	v_cndmask_b32_e64 v2, v6, v7, s[0:1]
	v_mov_b32_e32 v3, s2
	flat_load_dwordx2 v[4:5], v[2:3]
	s_xor_b64 s[4:5], s[0:1], -1
	v_pk_mov_b32 v[6:7], s[14:15], s[14:15] op_sel:[0,1]
	s_cbranch_vccnz .LBB21_2
; %bb.1:
	v_pk_mov_b32 v[2:3], s[12:13], s[12:13] op_sel:[0,1]
	flat_load_dwordx2 v[6:7], v[2:3] offset:8
.LBB21_2:
	s_and_b64 s[12:13], s[0:1], exec
	s_cselect_b32 s2, s3, s17
	v_mov_b32_e32 v2, s16
	v_cndmask_b32_e64 v2, v2, v0, s[0:1]
	v_mov_b32_e32 v3, s2
	flat_load_dwordx2 v[8:9], v[2:3]
	s_andn2_b64 vcc, exec, s[4:5]
	v_pk_mov_b32 v[10:11], s[18:19], s[18:19] op_sel:[0,1]
	s_cbranch_vccnz .LBB21_4
; %bb.3:
	v_pk_mov_b32 v[2:3], s[16:17], s[16:17] op_sel:[0,1]
	flat_load_dwordx2 v[10:11], v[2:3] offset:8
.LBB21_4:
	s_waitcnt vmcnt(0) lgkmcnt(0)
	v_cmp_eq_f64_e32 vcc, 0, v[4:5]
	v_cmp_eq_f64_e64 s[0:1], 0, v[6:7]
	s_and_b64 s[4:5], vcc, s[0:1]
	s_mov_b64 s[0:1], -1
	s_and_saveexec_b64 s[2:3], s[4:5]
; %bb.5:
	v_cmp_neq_f64_e32 vcc, 1.0, v[8:9]
	v_cmp_neq_f64_e64 s[0:1], 0, v[10:11]
	s_or_b64 s[0:1], vcc, s[0:1]
	s_orn2_b64 s[0:1], s[0:1], exec
; %bb.6:
	s_or_b64 exec, exec, s[2:3]
	s_and_saveexec_b64 s[2:3], s[0:1]
	s_cbranch_execz .LBB21_28
; %bb.7:
	s_load_dwordx2 s[0:1], s[6:7], 0x20
	s_waitcnt lgkmcnt(0)
	s_cmp_eq_u64 s[0:1], 0
	s_cbranch_scc1 .LBB21_9
; %bb.8:
	s_ashr_i32 s9, s8, 31
	s_lshl_b64 s[2:3], s[8:9], 2
	s_add_u32 s0, s0, s2
	s_addc_u32 s1, s1, s3
	s_load_dword s0, s[0:1], 0x0
	s_waitcnt lgkmcnt(0)
	s_sub_i32 s8, s0, s10
.LBB21_9:
	s_load_dword s11, s[6:7], 0x48
	v_lshrrev_b32_e32 v12, 3, v1
	s_waitcnt lgkmcnt(0)
	v_cmp_gt_i32_e32 vcc, s11, v12
	s_and_b64 exec, exec, vcc
	s_cbranch_execz .LBB21_28
; %bb.10:
	s_load_dwordx8 s[12:19], s[6:7], 0x28
	s_ashr_i32 s9, s8, 31
	s_lshl_b64 s[0:1], s[8:9], 3
	v_and_b32_e32 v14, 7, v1
	s_mul_hi_u32 s33, s11, s11
	s_waitcnt lgkmcnt(0)
	s_add_u32 s2, s12, s0
	s_addc_u32 s3, s13, s1
	s_load_dwordx2 s[28:29], s[2:3], 0x0
	s_load_dwordx2 s[12:13], s[6:7], 0x68
	;; [unrolled: 1-line block ×3, first 2 shown]
	s_mul_i32 s36, s11, s11
	v_cmp_eq_f64_e32 vcc, 0, v[8:9]
	s_waitcnt lgkmcnt(0)
	s_sub_u32 s24, s28, s10
	s_subb_u32 s25, s29, 0
	s_add_u32 s2, s2, 8
	s_addc_u32 s3, s3, 0
	s_add_u32 s0, s14, s0
	s_addc_u32 s1, s15, s1
	s_cmp_eq_u64 s[14:15], 0
	s_cselect_b32 s1, s3, s1
	s_cselect_b32 s0, s2, s0
	s_load_dwordx2 s[2:3], s[0:1], 0x0
	s_load_dword s4, s[6:7], 0x0
	s_mov_b64 s[22:23], 0
	v_cmp_gt_u32_e64 s[0:1], s11, v14
	s_mul_i32 s37, s8, s11
	s_waitcnt lgkmcnt(0)
	s_sub_u32 s6, s2, s10
	s_subb_u32 s7, s3, 0
	v_pk_mov_b32 v[0:1], s[2:3], s[2:3] op_sel:[0,1]
	s_cmp_lg_u32 s4, 0
	v_cmp_eq_f64_e64 s[4:5], 0, v[10:11]
	s_cselect_b64 s[14:15], -1, 0
	s_and_b64 s[26:27], vcc, s[4:5]
	s_mul_i32 s4, s24, s33
	s_mul_hi_u32 s5, s24, s36
	v_cmp_lt_i64_e32 vcc, s[28:29], v[0:1]
	s_add_i32 s4, s5, s4
	s_mul_i32 s5, s25, s36
	v_cndmask_b32_e64 v0, 0, 1, vcc
	v_cmp_eq_u32_e64 s[2:3], 7, v14
	s_add_i32 s38, s4, s5
	s_mul_i32 s39, s24, s36
	v_mul_lo_u32 v24, s11, v12
	s_lshl_b32 s40, s11, 3
	v_mov_b32_e32 v15, 0
	v_mul_lo_u32 v25, s11, v14
	v_cmp_ne_u32_e64 s[4:5], 1, v0
	s_branch .LBB21_12
.LBB21_11:                              ;   in Loop: Header=BB21_12 Depth=1
	s_or_b64 exec, exec, s[8:9]
	v_add_u32_e32 v12, 8, v12
	v_cmp_le_i32_e32 vcc, s11, v12
	s_or_b64 s[22:23], vcc, s[22:23]
	v_add_u32_e32 v24, s40, v24
	s_andn2_b64 exec, exec, s[22:23]
	s_cbranch_execz .LBB21_28
.LBB21_12:                              ; =>This Loop Header: Depth=1
                                        ;     Child Loop BB21_16 Depth 2
                                        ;       Child Loop BB21_19 Depth 3
	v_pk_mov_b32 v[0:1], 0, 0
	s_and_b64 vcc, exec, s[4:5]
	v_pk_mov_b32 v[2:3], v[0:1], v[0:1] op_sel:[0,1]
	s_cbranch_vccnz .LBB21_23
; %bb.13:                               ;   in Loop: Header=BB21_12 Depth=1
	v_ashrrev_i32_e32 v0, 31, v24
	v_mov_b32_e32 v1, s38
	v_add_co_u32_e32 v16, vcc, s39, v24
	v_addc_co_u32_e32 v17, vcc, v1, v0, vcc
	v_pk_mov_b32 v[0:1], 0, 0
	v_ashrrev_i32_e32 v13, 31, v12
	s_mov_b64 s[8:9], s[24:25]
	v_pk_mov_b32 v[2:3], v[0:1], v[0:1] op_sel:[0,1]
	s_branch .LBB21_16
.LBB21_14:                              ;   in Loop: Header=BB21_16 Depth=2
	s_or_b64 exec, exec, s[30:31]
.LBB21_15:                              ;   in Loop: Header=BB21_16 Depth=2
	s_or_b64 exec, exec, s[28:29]
	s_add_u32 s8, s8, 1
	v_mov_b32_e32 v18, s33
	v_add_co_u32_e32 v16, vcc, s36, v16
	s_addc_u32 s9, s9, 0
	v_addc_co_u32_e32 v17, vcc, v17, v18, vcc
	v_pk_mov_b32 v[18:19], s[6:7], s[6:7] op_sel:[0,1]
	v_cmp_ge_i64_e32 vcc, s[8:9], v[18:19]
	s_cbranch_vccnz .LBB21_23
.LBB21_16:                              ;   Parent Loop BB21_12 Depth=1
                                        ; =>  This Loop Header: Depth=2
                                        ;       Child Loop BB21_19 Depth 3
	s_and_saveexec_b64 s[28:29], s[0:1]
	s_cbranch_execz .LBB21_15
; %bb.17:                               ;   in Loop: Header=BB21_16 Depth=2
	s_lshl_b64 s[30:31], s[8:9], 2
	s_add_u32 s30, s16, s30
	s_addc_u32 s31, s17, s31
	s_load_dword s30, s[30:31], 0x0
	s_mul_i32 s31, s33, s8
	s_mul_i32 s34, s36, s9
	v_mov_b32_e32 v18, s8
	s_add_i32 s34, s34, s31
	s_waitcnt lgkmcnt(0)
	s_sub_i32 s35, s30, s10
	v_mad_u64_u32 v[18:19], s[30:31], s36, v18, v[12:13]
	v_add_u32_e32 v19, s34, v19
	s_mul_i32 s41, s35, s11
	s_mov_b64 s[30:31], 0
	v_mov_b32_e32 v26, v25
	v_pk_mov_b32 v[20:21], v[14:15], v[14:15] op_sel:[0,1]
	s_branch .LBB21_19
.LBB21_18:                              ;   in Loop: Header=BB21_19 Depth=3
	v_lshlrev_b64 v[22:23], 4, v[22:23]
	v_mov_b32_e32 v27, s19
	v_add_co_u32_e32 v22, vcc, s18, v22
	v_addc_co_u32_e32 v23, vcc, v27, v23, vcc
	global_load_dwordx4 v[28:31], v[22:23], off
	v_add_u32_e32 v22, s41, v20
	v_ashrrev_i32_e32 v23, 31, v22
	v_lshlrev_b64 v[22:23], 4, v[22:23]
	v_mov_b32_e32 v27, s21
	v_add_co_u32_e32 v22, vcc, s20, v22
	v_addc_co_u32_e32 v23, vcc, v27, v23, vcc
	global_load_dwordx4 v[32:35], v[22:23], off
	v_add_co_u32_e32 v20, vcc, 8, v20
	v_addc_co_u32_e32 v21, vcc, 0, v21, vcc
	v_cmp_le_i32_e32 vcc, s11, v20
	s_or_b64 s[30:31], vcc, s[30:31]
	v_add_u32_e32 v26, s40, v26
	s_waitcnt vmcnt(0)
	v_fmac_f64_e32 v[2:3], v[28:29], v[32:33]
	v_fmac_f64_e32 v[0:1], v[30:31], v[32:33]
	v_fma_f64 v[2:3], -v[30:31], v[34:35], v[2:3]
	v_fmac_f64_e32 v[0:1], v[28:29], v[34:35]
	s_andn2_b64 exec, exec, s[30:31]
	s_cbranch_execz .LBB21_14
.LBB21_19:                              ;   Parent Loop BB21_12 Depth=1
                                        ;     Parent Loop BB21_16 Depth=2
                                        ; =>    This Inner Loop Header: Depth=3
	s_and_b64 vcc, exec, s[14:15]
	s_cbranch_vccz .LBB21_21
; %bb.20:                               ;   in Loop: Header=BB21_19 Depth=3
	v_ashrrev_i32_e32 v23, 31, v26
	v_add_co_u32_e32 v22, vcc, v18, v26
	v_addc_co_u32_e32 v23, vcc, v19, v23, vcc
	s_cbranch_execnz .LBB21_18
	s_branch .LBB21_22
.LBB21_21:                              ;   in Loop: Header=BB21_19 Depth=3
                                        ; implicit-def: $vgpr22_vgpr23
.LBB21_22:                              ;   in Loop: Header=BB21_19 Depth=3
	v_add_co_u32_e32 v22, vcc, v16, v20
	v_addc_co_u32_e32 v23, vcc, v17, v21, vcc
	s_branch .LBB21_18
.LBB21_23:                              ;   in Loop: Header=BB21_12 Depth=1
	s_nop 0
	v_mov_b32_dpp v16, v2 row_shr:1 row_mask:0xf bank_mask:0xf
	v_mov_b32_dpp v17, v3 row_shr:1 row_mask:0xf bank_mask:0xf
	;; [unrolled: 1-line block ×4, first 2 shown]
	v_add_f64 v[2:3], v[2:3], v[16:17]
	v_add_f64 v[0:1], v[0:1], v[18:19]
	s_nop 0
	v_mov_b32_dpp v16, v2 row_shr:2 row_mask:0xf bank_mask:0xf
	v_mov_b32_dpp v17, v3 row_shr:2 row_mask:0xf bank_mask:0xf
	;; [unrolled: 1-line block ×4, first 2 shown]
	v_add_f64 v[2:3], v[2:3], v[16:17]
	v_add_f64 v[0:1], v[0:1], v[18:19]
	s_nop 0
	v_mov_b32_dpp v16, v2 row_shr:4 row_mask:0xf bank_mask:0xe
	v_mov_b32_dpp v17, v3 row_shr:4 row_mask:0xf bank_mask:0xe
	;; [unrolled: 1-line block ×4, first 2 shown]
	s_and_saveexec_b64 s[8:9], s[2:3]
	s_cbranch_execz .LBB21_11
; %bb.24:                               ;   in Loop: Header=BB21_12 Depth=1
	v_add_f64 v[20:21], v[2:3], v[16:17]
	v_add_f64 v[2:3], v[0:1], v[18:19]
	v_mul_f64 v[0:1], v[2:3], -v[6:7]
	v_mul_f64 v[2:3], v[4:5], v[2:3]
	v_add_u32_e32 v16, s37, v12
	v_fmac_f64_e32 v[0:1], v[4:5], v[20:21]
	v_fmac_f64_e32 v[2:3], v[6:7], v[20:21]
	v_ashrrev_i32_e32 v17, 31, v16
	s_and_saveexec_b64 s[28:29], s[26:27]
	s_xor_b64 s[28:29], exec, s[28:29]
	s_cbranch_execz .LBB21_26
; %bb.25:                               ;   in Loop: Header=BB21_12 Depth=1
	v_lshlrev_b64 v[16:17], 4, v[16:17]
	v_mov_b32_e32 v13, s13
	v_add_co_u32_e32 v16, vcc, s12, v16
	v_addc_co_u32_e32 v17, vcc, v13, v17, vcc
	global_store_dwordx4 v[16:17], v[0:3], off
                                        ; implicit-def: $vgpr16
                                        ; implicit-def: $vgpr0_vgpr1
.LBB21_26:                              ;   in Loop: Header=BB21_12 Depth=1
	s_andn2_saveexec_b64 s[28:29], s[28:29]
	s_cbranch_execz .LBB21_11
; %bb.27:                               ;   in Loop: Header=BB21_12 Depth=1
	v_lshlrev_b64 v[16:17], 4, v[16:17]
	v_mov_b32_e32 v13, s13
	v_add_co_u32_e32 v20, vcc, s12, v16
	v_addc_co_u32_e32 v21, vcc, v13, v17, vcc
	global_load_dwordx4 v[16:19], v[20:21], off
	s_waitcnt vmcnt(0)
	v_fmac_f64_e32 v[0:1], v[8:9], v[16:17]
	v_fmac_f64_e32 v[2:3], v[10:11], v[16:17]
	v_fma_f64 v[0:1], -v[10:11], v[18:19], v[0:1]
	v_fmac_f64_e32 v[2:3], v[8:9], v[18:19]
	global_store_dwordx4 v[20:21], v[0:3], off
	s_branch .LBB21_11
.LBB21_28:
	s_endpgm
	.section	.rodata,"a",@progbits
	.p2align	6, 0x0
	.amdhsa_kernel _ZN9rocsparseL22bsrxmvn_general_kernelILj64ELj8E21rocsparse_complex_numIdEliS2_S2_S2_EEv20rocsparse_direction_NS_24const_host_device_scalarIT1_EET3_PKS7_PKT2_SC_S9_PKT4_S7_PKT5_S6_PT6_21rocsparse_index_base_b
		.amdhsa_group_segment_fixed_size 1024
		.amdhsa_private_segment_fixed_size 0
		.amdhsa_kernarg_size 120
		.amdhsa_user_sgpr_count 8
		.amdhsa_user_sgpr_private_segment_buffer 1
		.amdhsa_user_sgpr_dispatch_ptr 1
		.amdhsa_user_sgpr_queue_ptr 0
		.amdhsa_user_sgpr_kernarg_segment_ptr 1
		.amdhsa_user_sgpr_dispatch_id 0
		.amdhsa_user_sgpr_flat_scratch_init 0
		.amdhsa_user_sgpr_kernarg_preload_length 0
		.amdhsa_user_sgpr_kernarg_preload_offset 0
		.amdhsa_user_sgpr_private_segment_size 0
		.amdhsa_uses_dynamic_stack 0
		.amdhsa_system_sgpr_private_segment_wavefront_offset 0
		.amdhsa_system_sgpr_workgroup_id_x 1
		.amdhsa_system_sgpr_workgroup_id_y 0
		.amdhsa_system_sgpr_workgroup_id_z 0
		.amdhsa_system_sgpr_workgroup_info 0
		.amdhsa_system_vgpr_workitem_id 2
		.amdhsa_next_free_vgpr 36
		.amdhsa_next_free_sgpr 42
		.amdhsa_accum_offset 36
		.amdhsa_reserve_vcc 1
		.amdhsa_reserve_flat_scratch 0
		.amdhsa_float_round_mode_32 0
		.amdhsa_float_round_mode_16_64 0
		.amdhsa_float_denorm_mode_32 3
		.amdhsa_float_denorm_mode_16_64 3
		.amdhsa_dx10_clamp 1
		.amdhsa_ieee_mode 1
		.amdhsa_fp16_overflow 0
		.amdhsa_tg_split 0
		.amdhsa_exception_fp_ieee_invalid_op 0
		.amdhsa_exception_fp_denorm_src 0
		.amdhsa_exception_fp_ieee_div_zero 0
		.amdhsa_exception_fp_ieee_overflow 0
		.amdhsa_exception_fp_ieee_underflow 0
		.amdhsa_exception_fp_ieee_inexact 0
		.amdhsa_exception_int_div_zero 0
	.end_amdhsa_kernel
	.section	.text._ZN9rocsparseL22bsrxmvn_general_kernelILj64ELj8E21rocsparse_complex_numIdEliS2_S2_S2_EEv20rocsparse_direction_NS_24const_host_device_scalarIT1_EET3_PKS7_PKT2_SC_S9_PKT4_S7_PKT5_S6_PT6_21rocsparse_index_base_b,"axG",@progbits,_ZN9rocsparseL22bsrxmvn_general_kernelILj64ELj8E21rocsparse_complex_numIdEliS2_S2_S2_EEv20rocsparse_direction_NS_24const_host_device_scalarIT1_EET3_PKS7_PKT2_SC_S9_PKT4_S7_PKT5_S6_PT6_21rocsparse_index_base_b,comdat
.Lfunc_end21:
	.size	_ZN9rocsparseL22bsrxmvn_general_kernelILj64ELj8E21rocsparse_complex_numIdEliS2_S2_S2_EEv20rocsparse_direction_NS_24const_host_device_scalarIT1_EET3_PKS7_PKT2_SC_S9_PKT4_S7_PKT5_S6_PT6_21rocsparse_index_base_b, .Lfunc_end21-_ZN9rocsparseL22bsrxmvn_general_kernelILj64ELj8E21rocsparse_complex_numIdEliS2_S2_S2_EEv20rocsparse_direction_NS_24const_host_device_scalarIT1_EET3_PKS7_PKT2_SC_S9_PKT4_S7_PKT5_S6_PT6_21rocsparse_index_base_b
                                        ; -- End function
	.section	.AMDGPU.csdata,"",@progbits
; Kernel info:
; codeLenInByte = 1356
; NumSgprs: 46
; NumVgprs: 36
; NumAgprs: 0
; TotalNumVgprs: 36
; ScratchSize: 0
; MemoryBound: 0
; FloatMode: 240
; IeeeMode: 1
; LDSByteSize: 1024 bytes/workgroup (compile time only)
; SGPRBlocks: 5
; VGPRBlocks: 4
; NumSGPRsForWavesPerEU: 46
; NumVGPRsForWavesPerEU: 36
; AccumOffset: 36
; Occupancy: 8
; WaveLimiterHint : 1
; COMPUTE_PGM_RSRC2:SCRATCH_EN: 0
; COMPUTE_PGM_RSRC2:USER_SGPR: 8
; COMPUTE_PGM_RSRC2:TRAP_HANDLER: 0
; COMPUTE_PGM_RSRC2:TGID_X_EN: 1
; COMPUTE_PGM_RSRC2:TGID_Y_EN: 0
; COMPUTE_PGM_RSRC2:TGID_Z_EN: 0
; COMPUTE_PGM_RSRC2:TIDIG_COMP_CNT: 2
; COMPUTE_PGM_RSRC3_GFX90A:ACCUM_OFFSET: 8
; COMPUTE_PGM_RSRC3_GFX90A:TG_SPLIT: 0
	.section	.text._ZN9rocsparseL22bsrxmvn_general_kernelILj256ELj16E21rocsparse_complex_numIdEliS2_S2_S2_EEv20rocsparse_direction_NS_24const_host_device_scalarIT1_EET3_PKS7_PKT2_SC_S9_PKT4_S7_PKT5_S6_PT6_21rocsparse_index_base_b,"axG",@progbits,_ZN9rocsparseL22bsrxmvn_general_kernelILj256ELj16E21rocsparse_complex_numIdEliS2_S2_S2_EEv20rocsparse_direction_NS_24const_host_device_scalarIT1_EET3_PKS7_PKT2_SC_S9_PKT4_S7_PKT5_S6_PT6_21rocsparse_index_base_b,comdat
	.globl	_ZN9rocsparseL22bsrxmvn_general_kernelILj256ELj16E21rocsparse_complex_numIdEliS2_S2_S2_EEv20rocsparse_direction_NS_24const_host_device_scalarIT1_EET3_PKS7_PKT2_SC_S9_PKT4_S7_PKT5_S6_PT6_21rocsparse_index_base_b ; -- Begin function _ZN9rocsparseL22bsrxmvn_general_kernelILj256ELj16E21rocsparse_complex_numIdEliS2_S2_S2_EEv20rocsparse_direction_NS_24const_host_device_scalarIT1_EET3_PKS7_PKT2_SC_S9_PKT4_S7_PKT5_S6_PT6_21rocsparse_index_base_b
	.p2align	8
	.type	_ZN9rocsparseL22bsrxmvn_general_kernelILj256ELj16E21rocsparse_complex_numIdEliS2_S2_S2_EEv20rocsparse_direction_NS_24const_host_device_scalarIT1_EET3_PKS7_PKT2_SC_S9_PKT4_S7_PKT5_S6_PT6_21rocsparse_index_base_b,@function
_ZN9rocsparseL22bsrxmvn_general_kernelILj256ELj16E21rocsparse_complex_numIdEliS2_S2_S2_EEv20rocsparse_direction_NS_24const_host_device_scalarIT1_EET3_PKS7_PKT2_SC_S9_PKT4_S7_PKT5_S6_PT6_21rocsparse_index_base_b: ; @_ZN9rocsparseL22bsrxmvn_general_kernelILj256ELj16E21rocsparse_complex_numIdEliS2_S2_S2_EEv20rocsparse_direction_NS_24const_host_device_scalarIT1_EET3_PKS7_PKT2_SC_S9_PKT4_S7_PKT5_S6_PT6_21rocsparse_index_base_b
; %bb.0:
	s_load_dwordx2 s[10:11], s[6:7], 0x70
	s_load_dwordx4 s[12:15], s[6:7], 0x8
	s_load_dwordx2 s[20:21], s[4:5], 0x4
	s_load_dwordx4 s[16:19], s[6:7], 0x58
	s_mov_b64 s[2:3], src_shared_base
	v_and_b32_e32 v1, 0x3ff, v0
	s_waitcnt lgkmcnt(0)
	s_bitcmp1_b32 s11, 0
	s_cselect_b64 s[0:1], -1, 0
	s_and_b64 vcc, s[0:1], exec
	s_cselect_b32 s2, s3, s13
	s_lshr_b32 s4, s20, 16
	s_mul_i32 s4, s4, s21
	v_mul_lo_u32 v2, s4, v1
	v_bfe_u32 v3, v0, 10, 10
	v_mad_u32_u24 v2, v3, s21, v2
	v_bfe_u32 v0, v0, 20, 10
	v_add_lshl_u32 v0, v2, v0, 3
	v_mov_b32_e32 v6, s12
	v_add_u32_e32 v7, 0x800, v0
	v_pk_mov_b32 v[2:3], s[12:13], s[12:13] op_sel:[0,1]
	v_pk_mov_b32 v[4:5], s[16:17], s[16:17] op_sel:[0,1]
	ds_write2st64_b64 v0, v[4:5], v[2:3] offset1:4
	v_cndmask_b32_e64 v2, v6, v7, s[0:1]
	v_mov_b32_e32 v3, s2
	flat_load_dwordx2 v[4:5], v[2:3]
	s_xor_b64 s[4:5], s[0:1], -1
	v_pk_mov_b32 v[6:7], s[14:15], s[14:15] op_sel:[0,1]
	s_cbranch_vccnz .LBB22_2
; %bb.1:
	v_pk_mov_b32 v[2:3], s[12:13], s[12:13] op_sel:[0,1]
	flat_load_dwordx2 v[6:7], v[2:3] offset:8
.LBB22_2:
	s_and_b64 s[12:13], s[0:1], exec
	s_cselect_b32 s2, s3, s17
	v_mov_b32_e32 v2, s16
	v_cndmask_b32_e64 v2, v2, v0, s[0:1]
	v_mov_b32_e32 v3, s2
	flat_load_dwordx2 v[8:9], v[2:3]
	s_andn2_b64 vcc, exec, s[4:5]
	v_pk_mov_b32 v[10:11], s[18:19], s[18:19] op_sel:[0,1]
	s_cbranch_vccnz .LBB22_4
; %bb.3:
	v_pk_mov_b32 v[2:3], s[16:17], s[16:17] op_sel:[0,1]
	flat_load_dwordx2 v[10:11], v[2:3] offset:8
.LBB22_4:
	s_waitcnt vmcnt(0) lgkmcnt(0)
	v_cmp_eq_f64_e32 vcc, 0, v[4:5]
	v_cmp_eq_f64_e64 s[0:1], 0, v[6:7]
	s_and_b64 s[4:5], vcc, s[0:1]
	s_mov_b64 s[0:1], -1
	s_and_saveexec_b64 s[2:3], s[4:5]
; %bb.5:
	v_cmp_neq_f64_e32 vcc, 1.0, v[8:9]
	v_cmp_neq_f64_e64 s[0:1], 0, v[10:11]
	s_or_b64 s[0:1], vcc, s[0:1]
	s_orn2_b64 s[0:1], s[0:1], exec
; %bb.6:
	s_or_b64 exec, exec, s[2:3]
	s_and_saveexec_b64 s[2:3], s[0:1]
	s_cbranch_execz .LBB22_28
; %bb.7:
	s_load_dwordx2 s[0:1], s[6:7], 0x20
	s_waitcnt lgkmcnt(0)
	s_cmp_eq_u64 s[0:1], 0
	s_cbranch_scc1 .LBB22_9
; %bb.8:
	s_ashr_i32 s9, s8, 31
	s_lshl_b64 s[2:3], s[8:9], 2
	s_add_u32 s0, s0, s2
	s_addc_u32 s1, s1, s3
	s_load_dword s0, s[0:1], 0x0
	s_waitcnt lgkmcnt(0)
	s_sub_i32 s8, s0, s10
.LBB22_9:
	s_load_dword s11, s[6:7], 0x48
	v_lshrrev_b32_e32 v12, 4, v1
	s_waitcnt lgkmcnt(0)
	v_cmp_gt_i32_e32 vcc, s11, v12
	s_and_b64 exec, exec, vcc
	s_cbranch_execz .LBB22_28
; %bb.10:
	s_load_dwordx8 s[12:19], s[6:7], 0x28
	s_ashr_i32 s9, s8, 31
	s_lshl_b64 s[0:1], s[8:9], 3
	v_and_b32_e32 v14, 15, v1
	s_mul_hi_u32 s33, s11, s11
	s_waitcnt lgkmcnt(0)
	s_add_u32 s2, s12, s0
	s_addc_u32 s3, s13, s1
	s_load_dwordx2 s[28:29], s[2:3], 0x0
	s_load_dwordx2 s[12:13], s[6:7], 0x68
	;; [unrolled: 1-line block ×3, first 2 shown]
	s_mul_i32 s36, s11, s11
	v_cmp_eq_f64_e32 vcc, 0, v[8:9]
	s_waitcnt lgkmcnt(0)
	s_sub_u32 s24, s28, s10
	s_subb_u32 s25, s29, 0
	s_add_u32 s2, s2, 8
	s_addc_u32 s3, s3, 0
	s_add_u32 s0, s14, s0
	s_addc_u32 s1, s15, s1
	s_cmp_eq_u64 s[14:15], 0
	s_cselect_b32 s1, s3, s1
	s_cselect_b32 s0, s2, s0
	s_load_dwordx2 s[2:3], s[0:1], 0x0
	s_load_dword s4, s[6:7], 0x0
	s_mov_b64 s[22:23], 0
	v_cmp_gt_u32_e64 s[0:1], s11, v14
	s_mul_i32 s37, s8, s11
	s_waitcnt lgkmcnt(0)
	s_sub_u32 s6, s2, s10
	s_subb_u32 s7, s3, 0
	v_pk_mov_b32 v[0:1], s[2:3], s[2:3] op_sel:[0,1]
	s_cmp_lg_u32 s4, 0
	v_cmp_eq_f64_e64 s[4:5], 0, v[10:11]
	s_cselect_b64 s[14:15], -1, 0
	s_and_b64 s[26:27], vcc, s[4:5]
	s_mul_i32 s4, s24, s33
	s_mul_hi_u32 s5, s24, s36
	v_cmp_lt_i64_e32 vcc, s[28:29], v[0:1]
	s_add_i32 s4, s5, s4
	s_mul_i32 s5, s25, s36
	v_cndmask_b32_e64 v0, 0, 1, vcc
	v_cmp_eq_u32_e64 s[2:3], 15, v14
	s_add_i32 s38, s4, s5
	s_mul_i32 s39, s24, s36
	v_mul_lo_u32 v24, s11, v12
	s_lshl_b32 s40, s11, 4
	v_mov_b32_e32 v15, 0
	v_mul_lo_u32 v25, s11, v14
	v_cmp_ne_u32_e64 s[4:5], 1, v0
	s_branch .LBB22_12
.LBB22_11:                              ;   in Loop: Header=BB22_12 Depth=1
	s_or_b64 exec, exec, s[8:9]
	v_add_u32_e32 v12, 16, v12
	v_cmp_le_i32_e32 vcc, s11, v12
	s_or_b64 s[22:23], vcc, s[22:23]
	v_add_u32_e32 v24, s40, v24
	s_andn2_b64 exec, exec, s[22:23]
	s_cbranch_execz .LBB22_28
.LBB22_12:                              ; =>This Loop Header: Depth=1
                                        ;     Child Loop BB22_16 Depth 2
                                        ;       Child Loop BB22_19 Depth 3
	v_pk_mov_b32 v[0:1], 0, 0
	s_and_b64 vcc, exec, s[4:5]
	v_pk_mov_b32 v[2:3], v[0:1], v[0:1] op_sel:[0,1]
	s_cbranch_vccnz .LBB22_23
; %bb.13:                               ;   in Loop: Header=BB22_12 Depth=1
	v_ashrrev_i32_e32 v0, 31, v24
	v_mov_b32_e32 v1, s38
	v_add_co_u32_e32 v16, vcc, s39, v24
	v_addc_co_u32_e32 v17, vcc, v1, v0, vcc
	v_pk_mov_b32 v[0:1], 0, 0
	v_ashrrev_i32_e32 v13, 31, v12
	s_mov_b64 s[8:9], s[24:25]
	v_pk_mov_b32 v[2:3], v[0:1], v[0:1] op_sel:[0,1]
	s_branch .LBB22_16
.LBB22_14:                              ;   in Loop: Header=BB22_16 Depth=2
	s_or_b64 exec, exec, s[30:31]
.LBB22_15:                              ;   in Loop: Header=BB22_16 Depth=2
	s_or_b64 exec, exec, s[28:29]
	s_add_u32 s8, s8, 1
	v_mov_b32_e32 v18, s33
	v_add_co_u32_e32 v16, vcc, s36, v16
	s_addc_u32 s9, s9, 0
	v_addc_co_u32_e32 v17, vcc, v17, v18, vcc
	v_pk_mov_b32 v[18:19], s[6:7], s[6:7] op_sel:[0,1]
	v_cmp_ge_i64_e32 vcc, s[8:9], v[18:19]
	s_cbranch_vccnz .LBB22_23
.LBB22_16:                              ;   Parent Loop BB22_12 Depth=1
                                        ; =>  This Loop Header: Depth=2
                                        ;       Child Loop BB22_19 Depth 3
	s_and_saveexec_b64 s[28:29], s[0:1]
	s_cbranch_execz .LBB22_15
; %bb.17:                               ;   in Loop: Header=BB22_16 Depth=2
	s_lshl_b64 s[30:31], s[8:9], 2
	s_add_u32 s30, s16, s30
	s_addc_u32 s31, s17, s31
	s_load_dword s30, s[30:31], 0x0
	s_mul_i32 s31, s33, s8
	s_mul_i32 s34, s36, s9
	v_mov_b32_e32 v18, s8
	s_add_i32 s34, s34, s31
	s_waitcnt lgkmcnt(0)
	s_sub_i32 s35, s30, s10
	v_mad_u64_u32 v[18:19], s[30:31], s36, v18, v[12:13]
	v_add_u32_e32 v19, s34, v19
	s_mul_i32 s41, s35, s11
	s_mov_b64 s[30:31], 0
	v_mov_b32_e32 v26, v25
	v_pk_mov_b32 v[20:21], v[14:15], v[14:15] op_sel:[0,1]
	s_branch .LBB22_19
.LBB22_18:                              ;   in Loop: Header=BB22_19 Depth=3
	v_lshlrev_b64 v[22:23], 4, v[22:23]
	v_mov_b32_e32 v27, s19
	v_add_co_u32_e32 v22, vcc, s18, v22
	v_addc_co_u32_e32 v23, vcc, v27, v23, vcc
	global_load_dwordx4 v[28:31], v[22:23], off
	v_add_u32_e32 v22, s41, v20
	v_ashrrev_i32_e32 v23, 31, v22
	v_lshlrev_b64 v[22:23], 4, v[22:23]
	v_mov_b32_e32 v27, s21
	v_add_co_u32_e32 v22, vcc, s20, v22
	v_addc_co_u32_e32 v23, vcc, v27, v23, vcc
	global_load_dwordx4 v[32:35], v[22:23], off
	v_add_co_u32_e32 v20, vcc, 16, v20
	v_addc_co_u32_e32 v21, vcc, 0, v21, vcc
	v_cmp_le_i32_e32 vcc, s11, v20
	s_or_b64 s[30:31], vcc, s[30:31]
	v_add_u32_e32 v26, s40, v26
	s_waitcnt vmcnt(0)
	v_fmac_f64_e32 v[2:3], v[28:29], v[32:33]
	v_fmac_f64_e32 v[0:1], v[30:31], v[32:33]
	v_fma_f64 v[2:3], -v[30:31], v[34:35], v[2:3]
	v_fmac_f64_e32 v[0:1], v[28:29], v[34:35]
	s_andn2_b64 exec, exec, s[30:31]
	s_cbranch_execz .LBB22_14
.LBB22_19:                              ;   Parent Loop BB22_12 Depth=1
                                        ;     Parent Loop BB22_16 Depth=2
                                        ; =>    This Inner Loop Header: Depth=3
	s_and_b64 vcc, exec, s[14:15]
	s_cbranch_vccz .LBB22_21
; %bb.20:                               ;   in Loop: Header=BB22_19 Depth=3
	v_ashrrev_i32_e32 v23, 31, v26
	v_add_co_u32_e32 v22, vcc, v18, v26
	v_addc_co_u32_e32 v23, vcc, v19, v23, vcc
	s_cbranch_execnz .LBB22_18
	s_branch .LBB22_22
.LBB22_21:                              ;   in Loop: Header=BB22_19 Depth=3
                                        ; implicit-def: $vgpr22_vgpr23
.LBB22_22:                              ;   in Loop: Header=BB22_19 Depth=3
	v_add_co_u32_e32 v22, vcc, v16, v20
	v_addc_co_u32_e32 v23, vcc, v17, v21, vcc
	s_branch .LBB22_18
.LBB22_23:                              ;   in Loop: Header=BB22_12 Depth=1
	s_nop 0
	v_mov_b32_dpp v16, v2 row_shr:1 row_mask:0xf bank_mask:0xf
	v_mov_b32_dpp v17, v3 row_shr:1 row_mask:0xf bank_mask:0xf
	v_mov_b32_dpp v18, v0 row_shr:1 row_mask:0xf bank_mask:0xf
	v_mov_b32_dpp v19, v1 row_shr:1 row_mask:0xf bank_mask:0xf
	v_add_f64 v[2:3], v[2:3], v[16:17]
	v_add_f64 v[0:1], v[0:1], v[18:19]
	s_nop 0
	v_mov_b32_dpp v16, v2 row_shr:2 row_mask:0xf bank_mask:0xf
	v_mov_b32_dpp v17, v3 row_shr:2 row_mask:0xf bank_mask:0xf
	v_mov_b32_dpp v18, v0 row_shr:2 row_mask:0xf bank_mask:0xf
	v_mov_b32_dpp v19, v1 row_shr:2 row_mask:0xf bank_mask:0xf
	v_add_f64 v[2:3], v[2:3], v[16:17]
	v_add_f64 v[0:1], v[0:1], v[18:19]
	;; [unrolled: 7-line block ×3, first 2 shown]
	s_nop 0
	v_mov_b32_dpp v16, v2 row_shr:8 row_mask:0xf bank_mask:0xc
	v_mov_b32_dpp v17, v3 row_shr:8 row_mask:0xf bank_mask:0xc
	;; [unrolled: 1-line block ×4, first 2 shown]
	s_and_saveexec_b64 s[8:9], s[2:3]
	s_cbranch_execz .LBB22_11
; %bb.24:                               ;   in Loop: Header=BB22_12 Depth=1
	v_add_f64 v[20:21], v[2:3], v[16:17]
	v_add_f64 v[2:3], v[0:1], v[18:19]
	v_mul_f64 v[0:1], v[2:3], -v[6:7]
	v_mul_f64 v[2:3], v[4:5], v[2:3]
	v_add_u32_e32 v16, s37, v12
	v_fmac_f64_e32 v[0:1], v[4:5], v[20:21]
	v_fmac_f64_e32 v[2:3], v[6:7], v[20:21]
	v_ashrrev_i32_e32 v17, 31, v16
	s_and_saveexec_b64 s[28:29], s[26:27]
	s_xor_b64 s[28:29], exec, s[28:29]
	s_cbranch_execz .LBB22_26
; %bb.25:                               ;   in Loop: Header=BB22_12 Depth=1
	v_lshlrev_b64 v[16:17], 4, v[16:17]
	v_mov_b32_e32 v13, s13
	v_add_co_u32_e32 v16, vcc, s12, v16
	v_addc_co_u32_e32 v17, vcc, v13, v17, vcc
	global_store_dwordx4 v[16:17], v[0:3], off
                                        ; implicit-def: $vgpr16
                                        ; implicit-def: $vgpr0_vgpr1
.LBB22_26:                              ;   in Loop: Header=BB22_12 Depth=1
	s_andn2_saveexec_b64 s[28:29], s[28:29]
	s_cbranch_execz .LBB22_11
; %bb.27:                               ;   in Loop: Header=BB22_12 Depth=1
	v_lshlrev_b64 v[16:17], 4, v[16:17]
	v_mov_b32_e32 v13, s13
	v_add_co_u32_e32 v20, vcc, s12, v16
	v_addc_co_u32_e32 v21, vcc, v13, v17, vcc
	global_load_dwordx4 v[16:19], v[20:21], off
	s_waitcnt vmcnt(0)
	v_fmac_f64_e32 v[0:1], v[8:9], v[16:17]
	v_fmac_f64_e32 v[2:3], v[10:11], v[16:17]
	v_fma_f64 v[0:1], -v[10:11], v[18:19], v[0:1]
	v_fmac_f64_e32 v[2:3], v[8:9], v[18:19]
	global_store_dwordx4 v[20:21], v[0:3], off
	s_branch .LBB22_11
.LBB22_28:
	s_endpgm
	.section	.rodata,"a",@progbits
	.p2align	6, 0x0
	.amdhsa_kernel _ZN9rocsparseL22bsrxmvn_general_kernelILj256ELj16E21rocsparse_complex_numIdEliS2_S2_S2_EEv20rocsparse_direction_NS_24const_host_device_scalarIT1_EET3_PKS7_PKT2_SC_S9_PKT4_S7_PKT5_S6_PT6_21rocsparse_index_base_b
		.amdhsa_group_segment_fixed_size 4096
		.amdhsa_private_segment_fixed_size 0
		.amdhsa_kernarg_size 120
		.amdhsa_user_sgpr_count 8
		.amdhsa_user_sgpr_private_segment_buffer 1
		.amdhsa_user_sgpr_dispatch_ptr 1
		.amdhsa_user_sgpr_queue_ptr 0
		.amdhsa_user_sgpr_kernarg_segment_ptr 1
		.amdhsa_user_sgpr_dispatch_id 0
		.amdhsa_user_sgpr_flat_scratch_init 0
		.amdhsa_user_sgpr_kernarg_preload_length 0
		.amdhsa_user_sgpr_kernarg_preload_offset 0
		.amdhsa_user_sgpr_private_segment_size 0
		.amdhsa_uses_dynamic_stack 0
		.amdhsa_system_sgpr_private_segment_wavefront_offset 0
		.amdhsa_system_sgpr_workgroup_id_x 1
		.amdhsa_system_sgpr_workgroup_id_y 0
		.amdhsa_system_sgpr_workgroup_id_z 0
		.amdhsa_system_sgpr_workgroup_info 0
		.amdhsa_system_vgpr_workitem_id 2
		.amdhsa_next_free_vgpr 36
		.amdhsa_next_free_sgpr 42
		.amdhsa_accum_offset 36
		.amdhsa_reserve_vcc 1
		.amdhsa_reserve_flat_scratch 0
		.amdhsa_float_round_mode_32 0
		.amdhsa_float_round_mode_16_64 0
		.amdhsa_float_denorm_mode_32 3
		.amdhsa_float_denorm_mode_16_64 3
		.amdhsa_dx10_clamp 1
		.amdhsa_ieee_mode 1
		.amdhsa_fp16_overflow 0
		.amdhsa_tg_split 0
		.amdhsa_exception_fp_ieee_invalid_op 0
		.amdhsa_exception_fp_denorm_src 0
		.amdhsa_exception_fp_ieee_div_zero 0
		.amdhsa_exception_fp_ieee_overflow 0
		.amdhsa_exception_fp_ieee_underflow 0
		.amdhsa_exception_fp_ieee_inexact 0
		.amdhsa_exception_int_div_zero 0
	.end_amdhsa_kernel
	.section	.text._ZN9rocsparseL22bsrxmvn_general_kernelILj256ELj16E21rocsparse_complex_numIdEliS2_S2_S2_EEv20rocsparse_direction_NS_24const_host_device_scalarIT1_EET3_PKS7_PKT2_SC_S9_PKT4_S7_PKT5_S6_PT6_21rocsparse_index_base_b,"axG",@progbits,_ZN9rocsparseL22bsrxmvn_general_kernelILj256ELj16E21rocsparse_complex_numIdEliS2_S2_S2_EEv20rocsparse_direction_NS_24const_host_device_scalarIT1_EET3_PKS7_PKT2_SC_S9_PKT4_S7_PKT5_S6_PT6_21rocsparse_index_base_b,comdat
.Lfunc_end22:
	.size	_ZN9rocsparseL22bsrxmvn_general_kernelILj256ELj16E21rocsparse_complex_numIdEliS2_S2_S2_EEv20rocsparse_direction_NS_24const_host_device_scalarIT1_EET3_PKS7_PKT2_SC_S9_PKT4_S7_PKT5_S6_PT6_21rocsparse_index_base_b, .Lfunc_end22-_ZN9rocsparseL22bsrxmvn_general_kernelILj256ELj16E21rocsparse_complex_numIdEliS2_S2_S2_EEv20rocsparse_direction_NS_24const_host_device_scalarIT1_EET3_PKS7_PKT2_SC_S9_PKT4_S7_PKT5_S6_PT6_21rocsparse_index_base_b
                                        ; -- End function
	.section	.AMDGPU.csdata,"",@progbits
; Kernel info:
; codeLenInByte = 1412
; NumSgprs: 46
; NumVgprs: 36
; NumAgprs: 0
; TotalNumVgprs: 36
; ScratchSize: 0
; MemoryBound: 0
; FloatMode: 240
; IeeeMode: 1
; LDSByteSize: 4096 bytes/workgroup (compile time only)
; SGPRBlocks: 5
; VGPRBlocks: 4
; NumSGPRsForWavesPerEU: 46
; NumVGPRsForWavesPerEU: 36
; AccumOffset: 36
; Occupancy: 8
; WaveLimiterHint : 1
; COMPUTE_PGM_RSRC2:SCRATCH_EN: 0
; COMPUTE_PGM_RSRC2:USER_SGPR: 8
; COMPUTE_PGM_RSRC2:TRAP_HANDLER: 0
; COMPUTE_PGM_RSRC2:TGID_X_EN: 1
; COMPUTE_PGM_RSRC2:TGID_Y_EN: 0
; COMPUTE_PGM_RSRC2:TGID_Z_EN: 0
; COMPUTE_PGM_RSRC2:TIDIG_COMP_CNT: 2
; COMPUTE_PGM_RSRC3_GFX90A:ACCUM_OFFSET: 8
; COMPUTE_PGM_RSRC3_GFX90A:TG_SPLIT: 0
	.section	.text._ZN9rocsparseL22bsrxmvn_general_kernelILj1024ELj32E21rocsparse_complex_numIdEliS2_S2_S2_EEv20rocsparse_direction_NS_24const_host_device_scalarIT1_EET3_PKS7_PKT2_SC_S9_PKT4_S7_PKT5_S6_PT6_21rocsparse_index_base_b,"axG",@progbits,_ZN9rocsparseL22bsrxmvn_general_kernelILj1024ELj32E21rocsparse_complex_numIdEliS2_S2_S2_EEv20rocsparse_direction_NS_24const_host_device_scalarIT1_EET3_PKS7_PKT2_SC_S9_PKT4_S7_PKT5_S6_PT6_21rocsparse_index_base_b,comdat
	.globl	_ZN9rocsparseL22bsrxmvn_general_kernelILj1024ELj32E21rocsparse_complex_numIdEliS2_S2_S2_EEv20rocsparse_direction_NS_24const_host_device_scalarIT1_EET3_PKS7_PKT2_SC_S9_PKT4_S7_PKT5_S6_PT6_21rocsparse_index_base_b ; -- Begin function _ZN9rocsparseL22bsrxmvn_general_kernelILj1024ELj32E21rocsparse_complex_numIdEliS2_S2_S2_EEv20rocsparse_direction_NS_24const_host_device_scalarIT1_EET3_PKS7_PKT2_SC_S9_PKT4_S7_PKT5_S6_PT6_21rocsparse_index_base_b
	.p2align	8
	.type	_ZN9rocsparseL22bsrxmvn_general_kernelILj1024ELj32E21rocsparse_complex_numIdEliS2_S2_S2_EEv20rocsparse_direction_NS_24const_host_device_scalarIT1_EET3_PKS7_PKT2_SC_S9_PKT4_S7_PKT5_S6_PT6_21rocsparse_index_base_b,@function
_ZN9rocsparseL22bsrxmvn_general_kernelILj1024ELj32E21rocsparse_complex_numIdEliS2_S2_S2_EEv20rocsparse_direction_NS_24const_host_device_scalarIT1_EET3_PKS7_PKT2_SC_S9_PKT4_S7_PKT5_S6_PT6_21rocsparse_index_base_b: ; @_ZN9rocsparseL22bsrxmvn_general_kernelILj1024ELj32E21rocsparse_complex_numIdEliS2_S2_S2_EEv20rocsparse_direction_NS_24const_host_device_scalarIT1_EET3_PKS7_PKT2_SC_S9_PKT4_S7_PKT5_S6_PT6_21rocsparse_index_base_b
; %bb.0:
	s_load_dwordx2 s[10:11], s[6:7], 0x70
	s_load_dwordx4 s[12:15], s[6:7], 0x8
	s_load_dwordx2 s[20:21], s[4:5], 0x4
	s_load_dwordx4 s[16:19], s[6:7], 0x58
	s_mov_b64 s[2:3], src_shared_base
	v_and_b32_e32 v1, 0x3ff, v0
	s_waitcnt lgkmcnt(0)
	s_bitcmp1_b32 s11, 0
	s_cselect_b64 s[0:1], -1, 0
	s_and_b64 vcc, s[0:1], exec
	s_cselect_b32 s2, s3, s13
	s_lshr_b32 s4, s20, 16
	s_mul_i32 s4, s4, s21
	v_mul_lo_u32 v2, s4, v1
	v_bfe_u32 v3, v0, 10, 10
	v_mad_u32_u24 v2, v3, s21, v2
	v_bfe_u32 v0, v0, 20, 10
	v_add_lshl_u32 v0, v2, v0, 3
	v_mov_b32_e32 v6, s12
	v_add_u32_e32 v7, 0x2000, v0
	v_pk_mov_b32 v[2:3], s[12:13], s[12:13] op_sel:[0,1]
	v_pk_mov_b32 v[4:5], s[16:17], s[16:17] op_sel:[0,1]
	ds_write2st64_b64 v0, v[4:5], v[2:3] offset1:16
	v_cndmask_b32_e64 v2, v6, v7, s[0:1]
	v_mov_b32_e32 v3, s2
	flat_load_dwordx2 v[4:5], v[2:3]
	s_xor_b64 s[4:5], s[0:1], -1
	v_pk_mov_b32 v[6:7], s[14:15], s[14:15] op_sel:[0,1]
	s_cbranch_vccnz .LBB23_2
; %bb.1:
	v_pk_mov_b32 v[2:3], s[12:13], s[12:13] op_sel:[0,1]
	flat_load_dwordx2 v[6:7], v[2:3] offset:8
.LBB23_2:
	s_and_b64 s[12:13], s[0:1], exec
	s_cselect_b32 s2, s3, s17
	v_mov_b32_e32 v2, s16
	v_cndmask_b32_e64 v2, v2, v0, s[0:1]
	v_mov_b32_e32 v3, s2
	flat_load_dwordx2 v[8:9], v[2:3]
	s_andn2_b64 vcc, exec, s[4:5]
	v_pk_mov_b32 v[10:11], s[18:19], s[18:19] op_sel:[0,1]
	s_cbranch_vccnz .LBB23_4
; %bb.3:
	v_pk_mov_b32 v[2:3], s[16:17], s[16:17] op_sel:[0,1]
	flat_load_dwordx2 v[10:11], v[2:3] offset:8
.LBB23_4:
	s_waitcnt vmcnt(0) lgkmcnt(0)
	v_cmp_eq_f64_e32 vcc, 0, v[4:5]
	v_cmp_eq_f64_e64 s[0:1], 0, v[6:7]
	s_and_b64 s[4:5], vcc, s[0:1]
	s_mov_b64 s[0:1], -1
	s_and_saveexec_b64 s[2:3], s[4:5]
; %bb.5:
	v_cmp_neq_f64_e32 vcc, 1.0, v[8:9]
	v_cmp_neq_f64_e64 s[0:1], 0, v[10:11]
	s_or_b64 s[0:1], vcc, s[0:1]
	s_orn2_b64 s[0:1], s[0:1], exec
; %bb.6:
	s_or_b64 exec, exec, s[2:3]
	s_and_saveexec_b64 s[2:3], s[0:1]
	s_cbranch_execz .LBB23_28
; %bb.7:
	s_load_dwordx2 s[0:1], s[6:7], 0x20
	s_waitcnt lgkmcnt(0)
	s_cmp_eq_u64 s[0:1], 0
	s_cbranch_scc1 .LBB23_9
; %bb.8:
	s_ashr_i32 s9, s8, 31
	s_lshl_b64 s[2:3], s[8:9], 2
	s_add_u32 s0, s0, s2
	s_addc_u32 s1, s1, s3
	s_load_dword s0, s[0:1], 0x0
	s_waitcnt lgkmcnt(0)
	s_sub_i32 s8, s0, s10
.LBB23_9:
	s_load_dword s11, s[6:7], 0x48
	v_lshrrev_b32_e32 v12, 5, v1
	s_waitcnt lgkmcnt(0)
	v_cmp_gt_i32_e32 vcc, s11, v12
	s_and_b64 exec, exec, vcc
	s_cbranch_execz .LBB23_28
; %bb.10:
	s_load_dwordx8 s[12:19], s[6:7], 0x28
	s_ashr_i32 s9, s8, 31
	s_lshl_b64 s[0:1], s[8:9], 3
	v_and_b32_e32 v14, 31, v1
	s_mul_hi_u32 s33, s11, s11
	s_waitcnt lgkmcnt(0)
	s_add_u32 s2, s12, s0
	s_addc_u32 s3, s13, s1
	s_load_dwordx2 s[28:29], s[2:3], 0x0
	s_load_dwordx2 s[12:13], s[6:7], 0x68
	;; [unrolled: 1-line block ×3, first 2 shown]
	s_mul_i32 s36, s11, s11
	v_cmp_eq_f64_e32 vcc, 0, v[8:9]
	s_waitcnt lgkmcnt(0)
	s_sub_u32 s24, s28, s10
	s_subb_u32 s25, s29, 0
	s_add_u32 s2, s2, 8
	s_addc_u32 s3, s3, 0
	s_add_u32 s0, s14, s0
	s_addc_u32 s1, s15, s1
	s_cmp_eq_u64 s[14:15], 0
	s_cselect_b32 s1, s3, s1
	s_cselect_b32 s0, s2, s0
	s_load_dwordx2 s[2:3], s[0:1], 0x0
	s_load_dword s4, s[6:7], 0x0
	v_mov_b32_e32 v13, 0
	s_mov_b64 s[22:23], 0
	v_cmp_gt_u32_e64 s[0:1], s11, v14
	s_waitcnt lgkmcnt(0)
	s_sub_u32 s6, s2, s10
	s_subb_u32 s7, s3, 0
	v_pk_mov_b32 v[0:1], s[2:3], s[2:3] op_sel:[0,1]
	s_cmp_lg_u32 s4, 0
	v_cmp_eq_f64_e64 s[4:5], 0, v[10:11]
	s_cselect_b64 s[14:15], -1, 0
	s_and_b64 s[26:27], vcc, s[4:5]
	s_mul_i32 s4, s24, s33
	s_mul_hi_u32 s5, s24, s36
	v_cmp_lt_i64_e32 vcc, s[28:29], v[0:1]
	s_add_i32 s4, s5, s4
	s_mul_i32 s5, s25, s36
	v_cndmask_b32_e64 v0, 0, 1, vcc
	v_cmp_eq_u32_e64 s[2:3], 31, v14
	s_mul_i32 s37, s8, s11
	s_add_i32 s38, s4, s5
	s_mul_i32 s39, s24, s36
	v_mul_lo_u32 v24, s11, v12
	s_lshl_b32 s40, s11, 5
	v_mov_b32_e32 v15, v13
	v_mul_lo_u32 v25, s11, v14
	v_cmp_ne_u32_e64 s[4:5], 1, v0
	s_branch .LBB23_12
.LBB23_11:                              ;   in Loop: Header=BB23_12 Depth=1
	s_or_b64 exec, exec, s[8:9]
	v_add_u32_e32 v12, 32, v12
	v_cmp_le_i32_e32 vcc, s11, v12
	s_or_b64 s[22:23], vcc, s[22:23]
	v_add_u32_e32 v24, s40, v24
	s_andn2_b64 exec, exec, s[22:23]
	s_cbranch_execz .LBB23_28
.LBB23_12:                              ; =>This Loop Header: Depth=1
                                        ;     Child Loop BB23_16 Depth 2
                                        ;       Child Loop BB23_19 Depth 3
	v_pk_mov_b32 v[0:1], 0, 0
	s_and_b64 vcc, exec, s[4:5]
	v_pk_mov_b32 v[2:3], v[0:1], v[0:1] op_sel:[0,1]
	s_cbranch_vccnz .LBB23_23
; %bb.13:                               ;   in Loop: Header=BB23_12 Depth=1
	v_ashrrev_i32_e32 v0, 31, v24
	v_mov_b32_e32 v1, s38
	v_add_co_u32_e32 v16, vcc, s39, v24
	v_addc_co_u32_e32 v17, vcc, v1, v0, vcc
	v_pk_mov_b32 v[0:1], 0, 0
	s_mov_b64 s[8:9], s[24:25]
	v_pk_mov_b32 v[2:3], v[0:1], v[0:1] op_sel:[0,1]
	s_branch .LBB23_16
.LBB23_14:                              ;   in Loop: Header=BB23_16 Depth=2
	s_or_b64 exec, exec, s[30:31]
.LBB23_15:                              ;   in Loop: Header=BB23_16 Depth=2
	s_or_b64 exec, exec, s[28:29]
	s_add_u32 s8, s8, 1
	v_mov_b32_e32 v18, s33
	v_add_co_u32_e32 v16, vcc, s36, v16
	s_addc_u32 s9, s9, 0
	v_addc_co_u32_e32 v17, vcc, v17, v18, vcc
	v_pk_mov_b32 v[18:19], s[6:7], s[6:7] op_sel:[0,1]
	v_cmp_ge_i64_e32 vcc, s[8:9], v[18:19]
	s_cbranch_vccnz .LBB23_23
.LBB23_16:                              ;   Parent Loop BB23_12 Depth=1
                                        ; =>  This Loop Header: Depth=2
                                        ;       Child Loop BB23_19 Depth 3
	s_and_saveexec_b64 s[28:29], s[0:1]
	s_cbranch_execz .LBB23_15
; %bb.17:                               ;   in Loop: Header=BB23_16 Depth=2
	s_lshl_b64 s[30:31], s[8:9], 2
	s_add_u32 s30, s16, s30
	s_addc_u32 s31, s17, s31
	s_load_dword s30, s[30:31], 0x0
	s_mul_i32 s31, s33, s8
	s_mul_i32 s34, s36, s9
	v_mov_b32_e32 v18, s8
	s_add_i32 s34, s34, s31
	s_waitcnt lgkmcnt(0)
	s_sub_i32 s35, s30, s10
	v_mad_u64_u32 v[18:19], s[30:31], s36, v18, v[12:13]
	v_add_u32_e32 v19, s34, v19
	s_mul_i32 s41, s35, s11
	s_mov_b64 s[30:31], 0
	v_mov_b32_e32 v26, v25
	v_pk_mov_b32 v[20:21], v[14:15], v[14:15] op_sel:[0,1]
	s_branch .LBB23_19
.LBB23_18:                              ;   in Loop: Header=BB23_19 Depth=3
	v_lshlrev_b64 v[22:23], 4, v[22:23]
	v_mov_b32_e32 v27, s19
	v_add_co_u32_e32 v22, vcc, s18, v22
	v_addc_co_u32_e32 v23, vcc, v27, v23, vcc
	global_load_dwordx4 v[28:31], v[22:23], off
	v_add_u32_e32 v22, s41, v20
	v_ashrrev_i32_e32 v23, 31, v22
	v_lshlrev_b64 v[22:23], 4, v[22:23]
	v_mov_b32_e32 v27, s21
	v_add_co_u32_e32 v22, vcc, s20, v22
	v_addc_co_u32_e32 v23, vcc, v27, v23, vcc
	global_load_dwordx4 v[32:35], v[22:23], off
	v_add_co_u32_e32 v20, vcc, 32, v20
	v_addc_co_u32_e32 v21, vcc, 0, v21, vcc
	v_cmp_le_i32_e32 vcc, s11, v20
	s_or_b64 s[30:31], vcc, s[30:31]
	v_add_u32_e32 v26, s40, v26
	s_waitcnt vmcnt(0)
	v_fmac_f64_e32 v[2:3], v[28:29], v[32:33]
	v_fmac_f64_e32 v[0:1], v[30:31], v[32:33]
	v_fma_f64 v[2:3], -v[30:31], v[34:35], v[2:3]
	v_fmac_f64_e32 v[0:1], v[28:29], v[34:35]
	s_andn2_b64 exec, exec, s[30:31]
	s_cbranch_execz .LBB23_14
.LBB23_19:                              ;   Parent Loop BB23_12 Depth=1
                                        ;     Parent Loop BB23_16 Depth=2
                                        ; =>    This Inner Loop Header: Depth=3
	s_and_b64 vcc, exec, s[14:15]
	s_cbranch_vccz .LBB23_21
; %bb.20:                               ;   in Loop: Header=BB23_19 Depth=3
	v_ashrrev_i32_e32 v23, 31, v26
	v_add_co_u32_e32 v22, vcc, v18, v26
	v_addc_co_u32_e32 v23, vcc, v19, v23, vcc
	s_cbranch_execnz .LBB23_18
	s_branch .LBB23_22
.LBB23_21:                              ;   in Loop: Header=BB23_19 Depth=3
                                        ; implicit-def: $vgpr22_vgpr23
.LBB23_22:                              ;   in Loop: Header=BB23_19 Depth=3
	v_add_co_u32_e32 v22, vcc, v16, v20
	v_addc_co_u32_e32 v23, vcc, v17, v21, vcc
	s_branch .LBB23_18
.LBB23_23:                              ;   in Loop: Header=BB23_12 Depth=1
	s_nop 0
	v_mov_b32_dpp v16, v2 row_shr:1 row_mask:0xf bank_mask:0xf
	v_mov_b32_dpp v17, v3 row_shr:1 row_mask:0xf bank_mask:0xf
	v_mov_b32_dpp v18, v0 row_shr:1 row_mask:0xf bank_mask:0xf
	v_mov_b32_dpp v19, v1 row_shr:1 row_mask:0xf bank_mask:0xf
	v_add_f64 v[2:3], v[2:3], v[16:17]
	v_add_f64 v[0:1], v[0:1], v[18:19]
	s_nop 0
	v_mov_b32_dpp v16, v2 row_shr:2 row_mask:0xf bank_mask:0xf
	v_mov_b32_dpp v17, v3 row_shr:2 row_mask:0xf bank_mask:0xf
	v_mov_b32_dpp v18, v0 row_shr:2 row_mask:0xf bank_mask:0xf
	v_mov_b32_dpp v19, v1 row_shr:2 row_mask:0xf bank_mask:0xf
	v_add_f64 v[2:3], v[2:3], v[16:17]
	v_add_f64 v[0:1], v[0:1], v[18:19]
	;; [unrolled: 7-line block ×4, first 2 shown]
	s_nop 0
	v_mov_b32_dpp v16, v2 row_bcast:15 row_mask:0xa bank_mask:0xf
	v_mov_b32_dpp v17, v3 row_bcast:15 row_mask:0xa bank_mask:0xf
	;; [unrolled: 1-line block ×4, first 2 shown]
	s_and_saveexec_b64 s[8:9], s[2:3]
	s_cbranch_execz .LBB23_11
; %bb.24:                               ;   in Loop: Header=BB23_12 Depth=1
	v_add_f64 v[20:21], v[2:3], v[16:17]
	v_add_f64 v[2:3], v[0:1], v[18:19]
	v_mul_f64 v[0:1], v[2:3], -v[6:7]
	v_mul_f64 v[2:3], v[4:5], v[2:3]
	v_add_u32_e32 v16, s37, v12
	v_fmac_f64_e32 v[0:1], v[4:5], v[20:21]
	v_fmac_f64_e32 v[2:3], v[6:7], v[20:21]
	v_ashrrev_i32_e32 v17, 31, v16
	s_and_saveexec_b64 s[28:29], s[26:27]
	s_xor_b64 s[28:29], exec, s[28:29]
	s_cbranch_execz .LBB23_26
; %bb.25:                               ;   in Loop: Header=BB23_12 Depth=1
	v_lshlrev_b64 v[16:17], 4, v[16:17]
	v_mov_b32_e32 v18, s13
	v_add_co_u32_e32 v16, vcc, s12, v16
	v_addc_co_u32_e32 v17, vcc, v18, v17, vcc
	global_store_dwordx4 v[16:17], v[0:3], off
                                        ; implicit-def: $vgpr16
                                        ; implicit-def: $vgpr0_vgpr1
.LBB23_26:                              ;   in Loop: Header=BB23_12 Depth=1
	s_andn2_saveexec_b64 s[28:29], s[28:29]
	s_cbranch_execz .LBB23_11
; %bb.27:                               ;   in Loop: Header=BB23_12 Depth=1
	v_lshlrev_b64 v[16:17], 4, v[16:17]
	v_mov_b32_e32 v18, s13
	v_add_co_u32_e32 v20, vcc, s12, v16
	v_addc_co_u32_e32 v21, vcc, v18, v17, vcc
	global_load_dwordx4 v[16:19], v[20:21], off
	s_waitcnt vmcnt(0)
	v_fmac_f64_e32 v[0:1], v[8:9], v[16:17]
	v_fmac_f64_e32 v[2:3], v[10:11], v[16:17]
	v_fma_f64 v[0:1], -v[10:11], v[18:19], v[0:1]
	v_fmac_f64_e32 v[2:3], v[8:9], v[18:19]
	global_store_dwordx4 v[20:21], v[0:3], off
	s_branch .LBB23_11
.LBB23_28:
	s_endpgm
	.section	.rodata,"a",@progbits
	.p2align	6, 0x0
	.amdhsa_kernel _ZN9rocsparseL22bsrxmvn_general_kernelILj1024ELj32E21rocsparse_complex_numIdEliS2_S2_S2_EEv20rocsparse_direction_NS_24const_host_device_scalarIT1_EET3_PKS7_PKT2_SC_S9_PKT4_S7_PKT5_S6_PT6_21rocsparse_index_base_b
		.amdhsa_group_segment_fixed_size 16384
		.amdhsa_private_segment_fixed_size 0
		.amdhsa_kernarg_size 120
		.amdhsa_user_sgpr_count 8
		.amdhsa_user_sgpr_private_segment_buffer 1
		.amdhsa_user_sgpr_dispatch_ptr 1
		.amdhsa_user_sgpr_queue_ptr 0
		.amdhsa_user_sgpr_kernarg_segment_ptr 1
		.amdhsa_user_sgpr_dispatch_id 0
		.amdhsa_user_sgpr_flat_scratch_init 0
		.amdhsa_user_sgpr_kernarg_preload_length 0
		.amdhsa_user_sgpr_kernarg_preload_offset 0
		.amdhsa_user_sgpr_private_segment_size 0
		.amdhsa_uses_dynamic_stack 0
		.amdhsa_system_sgpr_private_segment_wavefront_offset 0
		.amdhsa_system_sgpr_workgroup_id_x 1
		.amdhsa_system_sgpr_workgroup_id_y 0
		.amdhsa_system_sgpr_workgroup_id_z 0
		.amdhsa_system_sgpr_workgroup_info 0
		.amdhsa_system_vgpr_workitem_id 2
		.amdhsa_next_free_vgpr 36
		.amdhsa_next_free_sgpr 42
		.amdhsa_accum_offset 36
		.amdhsa_reserve_vcc 1
		.amdhsa_reserve_flat_scratch 0
		.amdhsa_float_round_mode_32 0
		.amdhsa_float_round_mode_16_64 0
		.amdhsa_float_denorm_mode_32 3
		.amdhsa_float_denorm_mode_16_64 3
		.amdhsa_dx10_clamp 1
		.amdhsa_ieee_mode 1
		.amdhsa_fp16_overflow 0
		.amdhsa_tg_split 0
		.amdhsa_exception_fp_ieee_invalid_op 0
		.amdhsa_exception_fp_denorm_src 0
		.amdhsa_exception_fp_ieee_div_zero 0
		.amdhsa_exception_fp_ieee_overflow 0
		.amdhsa_exception_fp_ieee_underflow 0
		.amdhsa_exception_fp_ieee_inexact 0
		.amdhsa_exception_int_div_zero 0
	.end_amdhsa_kernel
	.section	.text._ZN9rocsparseL22bsrxmvn_general_kernelILj1024ELj32E21rocsparse_complex_numIdEliS2_S2_S2_EEv20rocsparse_direction_NS_24const_host_device_scalarIT1_EET3_PKS7_PKT2_SC_S9_PKT4_S7_PKT5_S6_PT6_21rocsparse_index_base_b,"axG",@progbits,_ZN9rocsparseL22bsrxmvn_general_kernelILj1024ELj32E21rocsparse_complex_numIdEliS2_S2_S2_EEv20rocsparse_direction_NS_24const_host_device_scalarIT1_EET3_PKS7_PKT2_SC_S9_PKT4_S7_PKT5_S6_PT6_21rocsparse_index_base_b,comdat
.Lfunc_end23:
	.size	_ZN9rocsparseL22bsrxmvn_general_kernelILj1024ELj32E21rocsparse_complex_numIdEliS2_S2_S2_EEv20rocsparse_direction_NS_24const_host_device_scalarIT1_EET3_PKS7_PKT2_SC_S9_PKT4_S7_PKT5_S6_PT6_21rocsparse_index_base_b, .Lfunc_end23-_ZN9rocsparseL22bsrxmvn_general_kernelILj1024ELj32E21rocsparse_complex_numIdEliS2_S2_S2_EEv20rocsparse_direction_NS_24const_host_device_scalarIT1_EET3_PKS7_PKT2_SC_S9_PKT4_S7_PKT5_S6_PT6_21rocsparse_index_base_b
                                        ; -- End function
	.section	.AMDGPU.csdata,"",@progbits
; Kernel info:
; codeLenInByte = 1464
; NumSgprs: 46
; NumVgprs: 36
; NumAgprs: 0
; TotalNumVgprs: 36
; ScratchSize: 0
; MemoryBound: 0
; FloatMode: 240
; IeeeMode: 1
; LDSByteSize: 16384 bytes/workgroup (compile time only)
; SGPRBlocks: 5
; VGPRBlocks: 4
; NumSGPRsForWavesPerEU: 46
; NumVGPRsForWavesPerEU: 36
; AccumOffset: 36
; Occupancy: 8
; WaveLimiterHint : 1
; COMPUTE_PGM_RSRC2:SCRATCH_EN: 0
; COMPUTE_PGM_RSRC2:USER_SGPR: 8
; COMPUTE_PGM_RSRC2:TRAP_HANDLER: 0
; COMPUTE_PGM_RSRC2:TGID_X_EN: 1
; COMPUTE_PGM_RSRC2:TGID_Y_EN: 0
; COMPUTE_PGM_RSRC2:TGID_Z_EN: 0
; COMPUTE_PGM_RSRC2:TIDIG_COMP_CNT: 2
; COMPUTE_PGM_RSRC3_GFX90A:ACCUM_OFFSET: 8
; COMPUTE_PGM_RSRC3_GFX90A:TG_SPLIT: 0
	.section	.text._ZN9rocsparseL22bsrxmvn_general_kernelILj64ELj8EfllfffEEv20rocsparse_direction_NS_24const_host_device_scalarIT1_EET3_PKS5_PKT2_SA_S7_PKT4_S5_PKT5_S4_PT6_21rocsparse_index_base_b,"axG",@progbits,_ZN9rocsparseL22bsrxmvn_general_kernelILj64ELj8EfllfffEEv20rocsparse_direction_NS_24const_host_device_scalarIT1_EET3_PKS5_PKT2_SA_S7_PKT4_S5_PKT5_S4_PT6_21rocsparse_index_base_b,comdat
	.globl	_ZN9rocsparseL22bsrxmvn_general_kernelILj64ELj8EfllfffEEv20rocsparse_direction_NS_24const_host_device_scalarIT1_EET3_PKS5_PKT2_SA_S7_PKT4_S5_PKT5_S4_PT6_21rocsparse_index_base_b ; -- Begin function _ZN9rocsparseL22bsrxmvn_general_kernelILj64ELj8EfllfffEEv20rocsparse_direction_NS_24const_host_device_scalarIT1_EET3_PKS5_PKT2_SA_S7_PKT4_S5_PKT5_S4_PT6_21rocsparse_index_base_b
	.p2align	8
	.type	_ZN9rocsparseL22bsrxmvn_general_kernelILj64ELj8EfllfffEEv20rocsparse_direction_NS_24const_host_device_scalarIT1_EET3_PKS5_PKT2_SA_S7_PKT4_S5_PKT5_S4_PT6_21rocsparse_index_base_b,@function
_ZN9rocsparseL22bsrxmvn_general_kernelILj64ELj8EfllfffEEv20rocsparse_direction_NS_24const_host_device_scalarIT1_EET3_PKS5_PKT2_SA_S7_PKT4_S5_PKT5_S4_PT6_21rocsparse_index_base_b: ; @_ZN9rocsparseL22bsrxmvn_general_kernelILj64ELj8EfllfffEEv20rocsparse_direction_NS_24const_host_device_scalarIT1_EET3_PKS5_PKT2_SA_S7_PKT4_S5_PKT5_S4_PT6_21rocsparse_index_base_b
; %bb.0:
	s_load_dwordx2 s[16:17], s[4:5], 0x60
	s_load_dwordx2 s[18:19], s[4:5], 0x8
	s_load_dwordx2 s[20:21], s[4:5], 0x50
	s_waitcnt lgkmcnt(0)
	s_bitcmp1_b32 s17, 0
	s_cselect_b64 s[2:3], -1, 0
	s_xor_b64 s[0:1], s[2:3], -1
	s_and_b64 vcc, exec, s[2:3]
	s_cbranch_vccnz .LBB24_2
; %bb.1:
	s_load_dword s18, s[18:19], 0x0
.LBB24_2:
	s_andn2_b64 vcc, exec, s[0:1]
	s_cbranch_vccnz .LBB24_4
; %bb.3:
	s_load_dword s20, s[20:21], 0x0
.LBB24_4:
	s_waitcnt lgkmcnt(0)
	v_cmp_neq_f32_e64 s[0:1], s18, 0
	v_cmp_neq_f32_e64 s[2:3], s20, 1.0
	s_or_b64 s[0:1], s[0:1], s[2:3]
	s_andn2_b64 vcc, exec, s[0:1]
	s_mov_b32 s7, 0
	s_cbranch_vccnz .LBB24_26
; %bb.5:
	s_load_dwordx2 s[0:1], s[4:5], 0x18
	s_waitcnt lgkmcnt(0)
	s_cmp_eq_u64 s[0:1], 0
	s_cbranch_scc1 .LBB24_7
; %bb.6:
	s_lshl_b64 s[2:3], s[6:7], 3
	s_add_u32 s0, s0, s2
	s_addc_u32 s1, s1, s3
	s_load_dwordx2 s[0:1], s[0:1], 0x0
	s_waitcnt lgkmcnt(0)
	s_sub_u32 s6, s0, s16
	s_subb_u32 s7, s1, 0
.LBB24_7:
	s_load_dwordx2 s[22:23], s[4:5], 0x40
	v_lshrrev_b32_e32 v2, 3, v0
	v_mov_b32_e32 v3, 0
	s_waitcnt lgkmcnt(0)
	v_cmp_gt_i64_e32 vcc, s[22:23], v[2:3]
	s_and_saveexec_b64 s[0:1], vcc
	s_cbranch_execz .LBB24_26
; %bb.8:
	s_load_dwordx8 s[8:15], s[4:5], 0x20
	s_lshl_b64 s[0:1], s[6:7], 3
	v_and_b32_e32 v0, 7, v0
	v_lshlrev_b32_e32 v4, 2, v0
	v_mov_b32_e32 v1, v3
	s_waitcnt lgkmcnt(0)
	s_add_u32 s2, s8, s0
	s_addc_u32 s3, s9, s1
	s_load_dwordx2 s[34:35], s[2:3], 0x0
	s_load_dwordx2 s[30:31], s[4:5], 0x58
	;; [unrolled: 1-line block ×3, first 2 shown]
	s_mov_b64 s[8:9], 0
	s_mul_i32 s33, s22, s22
	s_waitcnt lgkmcnt(0)
	s_sub_u32 s24, s34, s16
	s_subb_u32 s25, s35, 0
	s_add_u32 s2, s2, 8
	s_addc_u32 s3, s3, 0
	s_add_u32 s0, s10, s0
	s_addc_u32 s1, s11, s1
	s_cmp_eq_u64 s[10:11], 0
	s_cselect_b32 s1, s3, s1
	s_cselect_b32 s0, s2, s0
	s_load_dwordx2 s[28:29], s[0:1], 0x0
	s_load_dword s17, s[4:5], 0x0
	s_mul_i32 s4, s6, s23
	s_mul_hi_u32 s5, s6, s22
	v_mov_b32_e32 v6, s24
	s_waitcnt lgkmcnt(0)
	s_sub_u32 s26, s28, s16
	s_subb_u32 s27, s29, 0
	s_cmp_lg_u32 s17, 0
	v_pk_mov_b32 v[8:9], s[28:29], s[28:29] op_sel:[0,1]
	s_cselect_b64 s[28:29], -1, 0
	s_add_i32 s4, s5, s4
	s_mul_i32 s5, s7, s22
	s_add_i32 s5, s4, s5
	s_mul_i32 s4, s6, s22
	s_lshl_b64 s[4:5], s[4:5], 2
	s_add_u32 s17, s30, s4
	s_addc_u32 s19, s31, s5
	s_mul_i32 s4, s23, s24
	s_mul_i32 s5, s22, s25
	s_add_i32 s21, s5, s4
	v_mad_u64_u32 v[6:7], s[4:5], s22, v6, v[2:3]
	v_mov_b32_e32 v5, s37
	v_add_co_u32_e32 v4, vcc, s36, v4
	v_add_u32_e32 v7, s21, v7
	v_addc_co_u32_e32 v5, vcc, 0, v5, vcc
	v_mul_lo_u32 v10, s22, v7
	v_mul_lo_u32 v11, s23, v6
	v_mad_u64_u32 v[6:7], s[4:5], s22, v6, 0
	s_mul_i32 s4, s22, s23
	s_mul_hi_u32 s5, s22, s22
	v_cmp_lt_i64_e32 vcc, s[34:35], v[8:9]
	s_add_i32 s5, s5, s4
	v_cndmask_b32_e64 v8, 0, 1, vcc
	v_cmp_eq_f32_e64 s[10:11], s20, 0
	v_cmp_gt_u64_e64 s[0:1], s[22:23], v[0:1]
	v_cmp_eq_u32_e64 s[2:3], 7, v0
	s_lshl_b64 s[6:7], s[22:23], 2
	v_add3_u32 v7, v7, v10, v11
	s_lshl_b64 s[30:31], s[22:23], 3
	s_add_i32 s21, s5, s4
	v_cmp_ne_u32_e64 s[4:5], 1, v8
	s_branch .LBB24_10
.LBB24_9:                               ;   in Loop: Header=BB24_10 Depth=1
	s_or_b64 exec, exec, s[34:35]
	v_add_co_u32_e32 v2, vcc, 8, v2
	v_addc_co_u32_e32 v3, vcc, 0, v3, vcc
	v_cmp_le_i64_e32 vcc, s[22:23], v[2:3]
	v_mov_b32_e32 v8, s31
	s_or_b64 s[8:9], vcc, s[8:9]
	v_add_co_u32_e32 v6, vcc, s30, v6
	v_addc_co_u32_e32 v7, vcc, v7, v8, vcc
	s_andn2_b64 exec, exec, s[8:9]
	s_cbranch_execz .LBB24_26
.LBB24_10:                              ; =>This Loop Header: Depth=1
                                        ;     Child Loop BB24_14 Depth 2
                                        ;       Child Loop BB24_17 Depth 3
	s_and_b64 vcc, exec, s[4:5]
	v_mov_b32_e32 v16, 0
	s_cbranch_vccnz .LBB24_21
; %bb.11:                               ;   in Loop: Header=BB24_10 Depth=1
	v_mov_b32_e32 v16, 0
	v_pk_mov_b32 v[8:9], v[6:7], v[6:7] op_sel:[0,1]
	s_mov_b64 s[34:35], s[24:25]
	s_branch .LBB24_14
.LBB24_12:                              ;   in Loop: Header=BB24_14 Depth=2
	s_or_b64 exec, exec, s[38:39]
.LBB24_13:                              ;   in Loop: Header=BB24_14 Depth=2
	s_or_b64 exec, exec, s[36:37]
	s_add_u32 s34, s34, 1
	v_mov_b32_e32 v10, s21
	v_add_co_u32_e32 v8, vcc, s33, v8
	s_addc_u32 s35, s35, 0
	v_addc_co_u32_e32 v9, vcc, v9, v10, vcc
	v_pk_mov_b32 v[10:11], s[26:27], s[26:27] op_sel:[0,1]
	v_cmp_ge_i64_e32 vcc, s[34:35], v[10:11]
	s_cbranch_vccnz .LBB24_21
.LBB24_14:                              ;   Parent Loop BB24_10 Depth=1
                                        ; =>  This Loop Header: Depth=2
                                        ;       Child Loop BB24_17 Depth 3
	s_and_saveexec_b64 s[36:37], s[0:1]
	s_cbranch_execz .LBB24_13
; %bb.15:                               ;   in Loop: Header=BB24_14 Depth=2
	s_lshl_b64 s[38:39], s[34:35], 3
	s_add_u32 s38, s12, s38
	s_addc_u32 s39, s13, s39
	s_load_dwordx2 s[38:39], s[38:39], 0x0
	s_mul_i32 s40, s34, s23
	s_mul_hi_u32 s41, s34, s22
	s_mul_i32 s42, s35, s22
	s_mul_i32 s43, s34, s22
	s_waitcnt lgkmcnt(0)
	s_sub_u32 s38, s38, s16
	s_subb_u32 s39, s39, 0
	s_add_i32 s40, s41, s40
	s_add_i32 s42, s40, s42
	s_mul_i32 s40, s7, s38
	s_mul_i32 s39, s6, s39
	v_mov_b32_e32 v10, s38
	s_add_i32 s40, s39, s40
	v_mad_u64_u32 v[10:11], s[38:39], s6, v10, v[4:5]
	v_add_u32_e32 v11, s40, v11
	s_mov_b64 s[38:39], 0
	v_pk_mov_b32 v[12:13], v[0:1], v[0:1] op_sel:[0,1]
	s_branch .LBB24_17
.LBB24_16:                              ;   in Loop: Header=BB24_17 Depth=3
	v_lshlrev_b64 v[14:15], 2, v[14:15]
	v_mov_b32_e32 v17, s15
	v_add_co_u32_e32 v14, vcc, s14, v14
	v_addc_co_u32_e32 v15, vcc, v17, v15, vcc
	global_load_dword v17, v[10:11], off
	global_load_dword v18, v[14:15], off
	v_add_co_u32_e32 v12, vcc, 8, v12
	v_addc_co_u32_e32 v13, vcc, 0, v13, vcc
	v_cmp_le_i64_e32 vcc, s[22:23], v[12:13]
	s_or_b64 s[38:39], vcc, s[38:39]
	v_add_co_u32_e32 v10, vcc, 32, v10
	v_addc_co_u32_e32 v11, vcc, 0, v11, vcc
	s_waitcnt vmcnt(0)
	v_fmac_f32_e32 v16, v18, v17
	s_andn2_b64 exec, exec, s[38:39]
	s_cbranch_execz .LBB24_12
.LBB24_17:                              ;   Parent Loop BB24_10 Depth=1
                                        ;     Parent Loop BB24_14 Depth=2
                                        ; =>    This Inner Loop Header: Depth=3
	s_and_b64 vcc, exec, s[28:29]
	s_cbranch_vccz .LBB24_19
; %bb.18:                               ;   in Loop: Header=BB24_17 Depth=3
	v_mov_b32_e32 v14, s42
	v_add_co_u32_e32 v15, vcc, s43, v12
	v_addc_co_u32_e32 v14, vcc, v13, v14, vcc
	v_mul_lo_u32 v17, v15, s23
	v_mul_lo_u32 v18, v14, s22
	v_mad_u64_u32 v[14:15], s[40:41], v15, s22, v[2:3]
	v_add3_u32 v15, v18, v15, v17
	s_cbranch_execnz .LBB24_16
	s_branch .LBB24_20
.LBB24_19:                              ;   in Loop: Header=BB24_17 Depth=3
                                        ; implicit-def: $vgpr14_vgpr15
.LBB24_20:                              ;   in Loop: Header=BB24_17 Depth=3
	v_add_co_u32_e32 v14, vcc, v8, v12
	v_addc_co_u32_e32 v15, vcc, v9, v13, vcc
	s_branch .LBB24_16
.LBB24_21:                              ;   in Loop: Header=BB24_10 Depth=1
	s_nop 0
	v_mov_b32_dpp v8, v16 row_shr:1 row_mask:0xf bank_mask:0xf
	v_add_f32_e32 v8, v16, v8
	s_nop 1
	v_mov_b32_dpp v9, v8 row_shr:2 row_mask:0xf bank_mask:0xf
	v_add_f32_e32 v8, v8, v9
	s_nop 1
	v_mov_b32_dpp v9, v8 row_shr:4 row_mask:0xf bank_mask:0xe
	s_and_saveexec_b64 s[34:35], s[2:3]
	s_cbranch_execz .LBB24_9
; %bb.22:                               ;   in Loop: Header=BB24_10 Depth=1
	v_add_f32_e32 v8, v8, v9
	s_and_b64 vcc, exec, s[10:11]
	v_mul_f32_e32 v10, s18, v8
	v_lshlrev_b64 v[8:9], 2, v[2:3]
	s_cbranch_vccz .LBB24_24
; %bb.23:                               ;   in Loop: Header=BB24_10 Depth=1
	v_mov_b32_e32 v11, s19
	v_add_co_u32_e32 v12, vcc, s17, v8
	v_addc_co_u32_e32 v13, vcc, v11, v9, vcc
	global_store_dword v[12:13], v10, off
	s_cbranch_execnz .LBB24_9
	s_branch .LBB24_25
.LBB24_24:                              ;   in Loop: Header=BB24_10 Depth=1
.LBB24_25:                              ;   in Loop: Header=BB24_10 Depth=1
	v_mov_b32_e32 v11, s19
	v_add_co_u32_e32 v8, vcc, s17, v8
	v_addc_co_u32_e32 v9, vcc, v11, v9, vcc
	global_load_dword v11, v[8:9], off
	s_waitcnt vmcnt(0)
	v_fmac_f32_e32 v10, s20, v11
	global_store_dword v[8:9], v10, off
	s_branch .LBB24_9
.LBB24_26:
	s_endpgm
	.section	.rodata,"a",@progbits
	.p2align	6, 0x0
	.amdhsa_kernel _ZN9rocsparseL22bsrxmvn_general_kernelILj64ELj8EfllfffEEv20rocsparse_direction_NS_24const_host_device_scalarIT1_EET3_PKS5_PKT2_SA_S7_PKT4_S5_PKT5_S4_PT6_21rocsparse_index_base_b
		.amdhsa_group_segment_fixed_size 0
		.amdhsa_private_segment_fixed_size 0
		.amdhsa_kernarg_size 104
		.amdhsa_user_sgpr_count 6
		.amdhsa_user_sgpr_private_segment_buffer 1
		.amdhsa_user_sgpr_dispatch_ptr 0
		.amdhsa_user_sgpr_queue_ptr 0
		.amdhsa_user_sgpr_kernarg_segment_ptr 1
		.amdhsa_user_sgpr_dispatch_id 0
		.amdhsa_user_sgpr_flat_scratch_init 0
		.amdhsa_user_sgpr_kernarg_preload_length 0
		.amdhsa_user_sgpr_kernarg_preload_offset 0
		.amdhsa_user_sgpr_private_segment_size 0
		.amdhsa_uses_dynamic_stack 0
		.amdhsa_system_sgpr_private_segment_wavefront_offset 0
		.amdhsa_system_sgpr_workgroup_id_x 1
		.amdhsa_system_sgpr_workgroup_id_y 0
		.amdhsa_system_sgpr_workgroup_id_z 0
		.amdhsa_system_sgpr_workgroup_info 0
		.amdhsa_system_vgpr_workitem_id 0
		.amdhsa_next_free_vgpr 19
		.amdhsa_next_free_sgpr 44
		.amdhsa_accum_offset 20
		.amdhsa_reserve_vcc 1
		.amdhsa_reserve_flat_scratch 0
		.amdhsa_float_round_mode_32 0
		.amdhsa_float_round_mode_16_64 0
		.amdhsa_float_denorm_mode_32 3
		.amdhsa_float_denorm_mode_16_64 3
		.amdhsa_dx10_clamp 1
		.amdhsa_ieee_mode 1
		.amdhsa_fp16_overflow 0
		.amdhsa_tg_split 0
		.amdhsa_exception_fp_ieee_invalid_op 0
		.amdhsa_exception_fp_denorm_src 0
		.amdhsa_exception_fp_ieee_div_zero 0
		.amdhsa_exception_fp_ieee_overflow 0
		.amdhsa_exception_fp_ieee_underflow 0
		.amdhsa_exception_fp_ieee_inexact 0
		.amdhsa_exception_int_div_zero 0
	.end_amdhsa_kernel
	.section	.text._ZN9rocsparseL22bsrxmvn_general_kernelILj64ELj8EfllfffEEv20rocsparse_direction_NS_24const_host_device_scalarIT1_EET3_PKS5_PKT2_SA_S7_PKT4_S5_PKT5_S4_PT6_21rocsparse_index_base_b,"axG",@progbits,_ZN9rocsparseL22bsrxmvn_general_kernelILj64ELj8EfllfffEEv20rocsparse_direction_NS_24const_host_device_scalarIT1_EET3_PKS5_PKT2_SA_S7_PKT4_S5_PKT5_S4_PT6_21rocsparse_index_base_b,comdat
.Lfunc_end24:
	.size	_ZN9rocsparseL22bsrxmvn_general_kernelILj64ELj8EfllfffEEv20rocsparse_direction_NS_24const_host_device_scalarIT1_EET3_PKS5_PKT2_SA_S7_PKT4_S5_PKT5_S4_PT6_21rocsparse_index_base_b, .Lfunc_end24-_ZN9rocsparseL22bsrxmvn_general_kernelILj64ELj8EfllfffEEv20rocsparse_direction_NS_24const_host_device_scalarIT1_EET3_PKS5_PKT2_SA_S7_PKT4_S5_PKT5_S4_PT6_21rocsparse_index_base_b
                                        ; -- End function
	.section	.AMDGPU.csdata,"",@progbits
; Kernel info:
; codeLenInByte = 1044
; NumSgprs: 48
; NumVgprs: 19
; NumAgprs: 0
; TotalNumVgprs: 19
; ScratchSize: 0
; MemoryBound: 0
; FloatMode: 240
; IeeeMode: 1
; LDSByteSize: 0 bytes/workgroup (compile time only)
; SGPRBlocks: 5
; VGPRBlocks: 2
; NumSGPRsForWavesPerEU: 48
; NumVGPRsForWavesPerEU: 19
; AccumOffset: 20
; Occupancy: 8
; WaveLimiterHint : 0
; COMPUTE_PGM_RSRC2:SCRATCH_EN: 0
; COMPUTE_PGM_RSRC2:USER_SGPR: 6
; COMPUTE_PGM_RSRC2:TRAP_HANDLER: 0
; COMPUTE_PGM_RSRC2:TGID_X_EN: 1
; COMPUTE_PGM_RSRC2:TGID_Y_EN: 0
; COMPUTE_PGM_RSRC2:TGID_Z_EN: 0
; COMPUTE_PGM_RSRC2:TIDIG_COMP_CNT: 0
; COMPUTE_PGM_RSRC3_GFX90A:ACCUM_OFFSET: 4
; COMPUTE_PGM_RSRC3_GFX90A:TG_SPLIT: 0
	.section	.text._ZN9rocsparseL22bsrxmvn_general_kernelILj256ELj16EfllfffEEv20rocsparse_direction_NS_24const_host_device_scalarIT1_EET3_PKS5_PKT2_SA_S7_PKT4_S5_PKT5_S4_PT6_21rocsparse_index_base_b,"axG",@progbits,_ZN9rocsparseL22bsrxmvn_general_kernelILj256ELj16EfllfffEEv20rocsparse_direction_NS_24const_host_device_scalarIT1_EET3_PKS5_PKT2_SA_S7_PKT4_S5_PKT5_S4_PT6_21rocsparse_index_base_b,comdat
	.globl	_ZN9rocsparseL22bsrxmvn_general_kernelILj256ELj16EfllfffEEv20rocsparse_direction_NS_24const_host_device_scalarIT1_EET3_PKS5_PKT2_SA_S7_PKT4_S5_PKT5_S4_PT6_21rocsparse_index_base_b ; -- Begin function _ZN9rocsparseL22bsrxmvn_general_kernelILj256ELj16EfllfffEEv20rocsparse_direction_NS_24const_host_device_scalarIT1_EET3_PKS5_PKT2_SA_S7_PKT4_S5_PKT5_S4_PT6_21rocsparse_index_base_b
	.p2align	8
	.type	_ZN9rocsparseL22bsrxmvn_general_kernelILj256ELj16EfllfffEEv20rocsparse_direction_NS_24const_host_device_scalarIT1_EET3_PKS5_PKT2_SA_S7_PKT4_S5_PKT5_S4_PT6_21rocsparse_index_base_b,@function
_ZN9rocsparseL22bsrxmvn_general_kernelILj256ELj16EfllfffEEv20rocsparse_direction_NS_24const_host_device_scalarIT1_EET3_PKS5_PKT2_SA_S7_PKT4_S5_PKT5_S4_PT6_21rocsparse_index_base_b: ; @_ZN9rocsparseL22bsrxmvn_general_kernelILj256ELj16EfllfffEEv20rocsparse_direction_NS_24const_host_device_scalarIT1_EET3_PKS5_PKT2_SA_S7_PKT4_S5_PKT5_S4_PT6_21rocsparse_index_base_b
; %bb.0:
	s_load_dwordx2 s[16:17], s[4:5], 0x60
	s_load_dwordx2 s[18:19], s[4:5], 0x8
	;; [unrolled: 1-line block ×3, first 2 shown]
	s_waitcnt lgkmcnt(0)
	s_bitcmp1_b32 s17, 0
	s_cselect_b64 s[2:3], -1, 0
	s_xor_b64 s[0:1], s[2:3], -1
	s_and_b64 vcc, exec, s[2:3]
	s_cbranch_vccnz .LBB25_2
; %bb.1:
	s_load_dword s18, s[18:19], 0x0
.LBB25_2:
	s_andn2_b64 vcc, exec, s[0:1]
	s_cbranch_vccnz .LBB25_4
; %bb.3:
	s_load_dword s20, s[20:21], 0x0
.LBB25_4:
	s_waitcnt lgkmcnt(0)
	v_cmp_neq_f32_e64 s[0:1], s18, 0
	v_cmp_neq_f32_e64 s[2:3], s20, 1.0
	s_or_b64 s[0:1], s[0:1], s[2:3]
	s_andn2_b64 vcc, exec, s[0:1]
	s_mov_b32 s7, 0
	s_cbranch_vccnz .LBB25_26
; %bb.5:
	s_load_dwordx2 s[0:1], s[4:5], 0x18
	s_waitcnt lgkmcnt(0)
	s_cmp_eq_u64 s[0:1], 0
	s_cbranch_scc1 .LBB25_7
; %bb.6:
	s_lshl_b64 s[2:3], s[6:7], 3
	s_add_u32 s0, s0, s2
	s_addc_u32 s1, s1, s3
	s_load_dwordx2 s[0:1], s[0:1], 0x0
	s_waitcnt lgkmcnt(0)
	s_sub_u32 s6, s0, s16
	s_subb_u32 s7, s1, 0
.LBB25_7:
	s_load_dwordx2 s[22:23], s[4:5], 0x40
	v_lshrrev_b32_e32 v2, 4, v0
	v_mov_b32_e32 v3, 0
	s_waitcnt lgkmcnt(0)
	v_cmp_gt_i64_e32 vcc, s[22:23], v[2:3]
	s_and_saveexec_b64 s[0:1], vcc
	s_cbranch_execz .LBB25_26
; %bb.8:
	s_load_dwordx8 s[8:15], s[4:5], 0x20
	s_lshl_b64 s[0:1], s[6:7], 3
	v_and_b32_e32 v0, 15, v0
	v_lshlrev_b32_e32 v4, 2, v0
	v_mov_b32_e32 v1, v3
	s_waitcnt lgkmcnt(0)
	s_add_u32 s2, s8, s0
	s_addc_u32 s3, s9, s1
	s_load_dwordx2 s[34:35], s[2:3], 0x0
	s_load_dwordx2 s[30:31], s[4:5], 0x58
	;; [unrolled: 1-line block ×3, first 2 shown]
	s_mov_b64 s[8:9], 0
	s_mul_i32 s33, s22, s22
	s_waitcnt lgkmcnt(0)
	s_sub_u32 s24, s34, s16
	s_subb_u32 s25, s35, 0
	s_add_u32 s2, s2, 8
	s_addc_u32 s3, s3, 0
	s_add_u32 s0, s10, s0
	s_addc_u32 s1, s11, s1
	s_cmp_eq_u64 s[10:11], 0
	s_cselect_b32 s1, s3, s1
	s_cselect_b32 s0, s2, s0
	s_load_dwordx2 s[28:29], s[0:1], 0x0
	s_load_dword s17, s[4:5], 0x0
	s_mul_i32 s4, s6, s23
	s_mul_hi_u32 s5, s6, s22
	v_mov_b32_e32 v6, s24
	s_waitcnt lgkmcnt(0)
	s_sub_u32 s26, s28, s16
	s_subb_u32 s27, s29, 0
	s_cmp_lg_u32 s17, 0
	v_pk_mov_b32 v[8:9], s[28:29], s[28:29] op_sel:[0,1]
	s_cselect_b64 s[28:29], -1, 0
	s_add_i32 s4, s5, s4
	s_mul_i32 s5, s7, s22
	s_add_i32 s5, s4, s5
	s_mul_i32 s4, s6, s22
	s_lshl_b64 s[4:5], s[4:5], 2
	s_add_u32 s17, s30, s4
	s_addc_u32 s19, s31, s5
	s_mul_i32 s4, s23, s24
	s_mul_i32 s5, s22, s25
	s_add_i32 s21, s5, s4
	v_mad_u64_u32 v[6:7], s[4:5], s22, v6, v[2:3]
	v_mov_b32_e32 v5, s37
	v_add_co_u32_e32 v4, vcc, s36, v4
	v_add_u32_e32 v7, s21, v7
	v_addc_co_u32_e32 v5, vcc, 0, v5, vcc
	v_mul_lo_u32 v10, s22, v7
	v_mul_lo_u32 v11, s23, v6
	v_mad_u64_u32 v[6:7], s[4:5], s22, v6, 0
	s_mul_i32 s4, s22, s23
	s_mul_hi_u32 s5, s22, s22
	v_cmp_lt_i64_e32 vcc, s[34:35], v[8:9]
	s_add_i32 s5, s5, s4
	v_cndmask_b32_e64 v8, 0, 1, vcc
	v_cmp_eq_f32_e64 s[10:11], s20, 0
	v_cmp_gt_u64_e64 s[0:1], s[22:23], v[0:1]
	v_cmp_eq_u32_e64 s[2:3], 15, v0
	s_lshl_b64 s[6:7], s[22:23], 2
	v_add3_u32 v7, v7, v10, v11
	s_lshl_b64 s[30:31], s[22:23], 4
	s_add_i32 s21, s5, s4
	v_cmp_ne_u32_e64 s[4:5], 1, v8
	s_branch .LBB25_10
.LBB25_9:                               ;   in Loop: Header=BB25_10 Depth=1
	s_or_b64 exec, exec, s[34:35]
	v_add_co_u32_e32 v2, vcc, 16, v2
	v_addc_co_u32_e32 v3, vcc, 0, v3, vcc
	v_cmp_le_i64_e32 vcc, s[22:23], v[2:3]
	v_mov_b32_e32 v8, s31
	s_or_b64 s[8:9], vcc, s[8:9]
	v_add_co_u32_e32 v6, vcc, s30, v6
	v_addc_co_u32_e32 v7, vcc, v7, v8, vcc
	s_andn2_b64 exec, exec, s[8:9]
	s_cbranch_execz .LBB25_26
.LBB25_10:                              ; =>This Loop Header: Depth=1
                                        ;     Child Loop BB25_14 Depth 2
                                        ;       Child Loop BB25_17 Depth 3
	s_and_b64 vcc, exec, s[4:5]
	v_mov_b32_e32 v16, 0
	s_cbranch_vccnz .LBB25_21
; %bb.11:                               ;   in Loop: Header=BB25_10 Depth=1
	v_mov_b32_e32 v16, 0
	v_pk_mov_b32 v[8:9], v[6:7], v[6:7] op_sel:[0,1]
	s_mov_b64 s[34:35], s[24:25]
	s_branch .LBB25_14
.LBB25_12:                              ;   in Loop: Header=BB25_14 Depth=2
	s_or_b64 exec, exec, s[38:39]
.LBB25_13:                              ;   in Loop: Header=BB25_14 Depth=2
	s_or_b64 exec, exec, s[36:37]
	s_add_u32 s34, s34, 1
	v_mov_b32_e32 v10, s21
	v_add_co_u32_e32 v8, vcc, s33, v8
	s_addc_u32 s35, s35, 0
	v_addc_co_u32_e32 v9, vcc, v9, v10, vcc
	v_pk_mov_b32 v[10:11], s[26:27], s[26:27] op_sel:[0,1]
	v_cmp_ge_i64_e32 vcc, s[34:35], v[10:11]
	s_cbranch_vccnz .LBB25_21
.LBB25_14:                              ;   Parent Loop BB25_10 Depth=1
                                        ; =>  This Loop Header: Depth=2
                                        ;       Child Loop BB25_17 Depth 3
	s_and_saveexec_b64 s[36:37], s[0:1]
	s_cbranch_execz .LBB25_13
; %bb.15:                               ;   in Loop: Header=BB25_14 Depth=2
	s_lshl_b64 s[38:39], s[34:35], 3
	s_add_u32 s38, s12, s38
	s_addc_u32 s39, s13, s39
	s_load_dwordx2 s[38:39], s[38:39], 0x0
	s_mul_i32 s40, s34, s23
	s_mul_hi_u32 s41, s34, s22
	s_mul_i32 s42, s35, s22
	s_mul_i32 s43, s34, s22
	s_waitcnt lgkmcnt(0)
	s_sub_u32 s38, s38, s16
	s_subb_u32 s39, s39, 0
	s_add_i32 s40, s41, s40
	s_add_i32 s42, s40, s42
	s_mul_i32 s40, s7, s38
	s_mul_i32 s39, s6, s39
	v_mov_b32_e32 v10, s38
	s_add_i32 s40, s39, s40
	v_mad_u64_u32 v[10:11], s[38:39], s6, v10, v[4:5]
	v_add_u32_e32 v11, s40, v11
	s_mov_b64 s[38:39], 0
	v_pk_mov_b32 v[12:13], v[0:1], v[0:1] op_sel:[0,1]
	s_branch .LBB25_17
.LBB25_16:                              ;   in Loop: Header=BB25_17 Depth=3
	v_lshlrev_b64 v[14:15], 2, v[14:15]
	v_mov_b32_e32 v17, s15
	v_add_co_u32_e32 v14, vcc, s14, v14
	v_addc_co_u32_e32 v15, vcc, v17, v15, vcc
	global_load_dword v17, v[10:11], off
	global_load_dword v18, v[14:15], off
	v_add_co_u32_e32 v12, vcc, 16, v12
	v_addc_co_u32_e32 v13, vcc, 0, v13, vcc
	v_cmp_le_i64_e32 vcc, s[22:23], v[12:13]
	s_or_b64 s[38:39], vcc, s[38:39]
	v_add_co_u32_e32 v10, vcc, 64, v10
	v_addc_co_u32_e32 v11, vcc, 0, v11, vcc
	s_waitcnt vmcnt(0)
	v_fmac_f32_e32 v16, v18, v17
	s_andn2_b64 exec, exec, s[38:39]
	s_cbranch_execz .LBB25_12
.LBB25_17:                              ;   Parent Loop BB25_10 Depth=1
                                        ;     Parent Loop BB25_14 Depth=2
                                        ; =>    This Inner Loop Header: Depth=3
	s_and_b64 vcc, exec, s[28:29]
	s_cbranch_vccz .LBB25_19
; %bb.18:                               ;   in Loop: Header=BB25_17 Depth=3
	v_mov_b32_e32 v14, s42
	v_add_co_u32_e32 v15, vcc, s43, v12
	v_addc_co_u32_e32 v14, vcc, v13, v14, vcc
	v_mul_lo_u32 v17, v15, s23
	v_mul_lo_u32 v18, v14, s22
	v_mad_u64_u32 v[14:15], s[40:41], v15, s22, v[2:3]
	v_add3_u32 v15, v18, v15, v17
	s_cbranch_execnz .LBB25_16
	s_branch .LBB25_20
.LBB25_19:                              ;   in Loop: Header=BB25_17 Depth=3
                                        ; implicit-def: $vgpr14_vgpr15
.LBB25_20:                              ;   in Loop: Header=BB25_17 Depth=3
	v_add_co_u32_e32 v14, vcc, v8, v12
	v_addc_co_u32_e32 v15, vcc, v9, v13, vcc
	s_branch .LBB25_16
.LBB25_21:                              ;   in Loop: Header=BB25_10 Depth=1
	s_nop 0
	v_mov_b32_dpp v8, v16 row_shr:1 row_mask:0xf bank_mask:0xf
	v_add_f32_e32 v8, v16, v8
	s_nop 1
	v_mov_b32_dpp v9, v8 row_shr:2 row_mask:0xf bank_mask:0xf
	v_add_f32_e32 v8, v8, v9
	;; [unrolled: 3-line block ×3, first 2 shown]
	s_nop 1
	v_mov_b32_dpp v9, v8 row_shr:8 row_mask:0xf bank_mask:0xc
	s_and_saveexec_b64 s[34:35], s[2:3]
	s_cbranch_execz .LBB25_9
; %bb.22:                               ;   in Loop: Header=BB25_10 Depth=1
	v_add_f32_e32 v8, v8, v9
	s_and_b64 vcc, exec, s[10:11]
	v_mul_f32_e32 v10, s18, v8
	v_lshlrev_b64 v[8:9], 2, v[2:3]
	s_cbranch_vccz .LBB25_24
; %bb.23:                               ;   in Loop: Header=BB25_10 Depth=1
	v_mov_b32_e32 v11, s19
	v_add_co_u32_e32 v12, vcc, s17, v8
	v_addc_co_u32_e32 v13, vcc, v11, v9, vcc
	global_store_dword v[12:13], v10, off
	s_cbranch_execnz .LBB25_9
	s_branch .LBB25_25
.LBB25_24:                              ;   in Loop: Header=BB25_10 Depth=1
.LBB25_25:                              ;   in Loop: Header=BB25_10 Depth=1
	v_mov_b32_e32 v11, s19
	v_add_co_u32_e32 v8, vcc, s17, v8
	v_addc_co_u32_e32 v9, vcc, v11, v9, vcc
	global_load_dword v11, v[8:9], off
	s_waitcnt vmcnt(0)
	v_fmac_f32_e32 v10, s20, v11
	global_store_dword v[8:9], v10, off
	s_branch .LBB25_9
.LBB25_26:
	s_endpgm
	.section	.rodata,"a",@progbits
	.p2align	6, 0x0
	.amdhsa_kernel _ZN9rocsparseL22bsrxmvn_general_kernelILj256ELj16EfllfffEEv20rocsparse_direction_NS_24const_host_device_scalarIT1_EET3_PKS5_PKT2_SA_S7_PKT4_S5_PKT5_S4_PT6_21rocsparse_index_base_b
		.amdhsa_group_segment_fixed_size 0
		.amdhsa_private_segment_fixed_size 0
		.amdhsa_kernarg_size 104
		.amdhsa_user_sgpr_count 6
		.amdhsa_user_sgpr_private_segment_buffer 1
		.amdhsa_user_sgpr_dispatch_ptr 0
		.amdhsa_user_sgpr_queue_ptr 0
		.amdhsa_user_sgpr_kernarg_segment_ptr 1
		.amdhsa_user_sgpr_dispatch_id 0
		.amdhsa_user_sgpr_flat_scratch_init 0
		.amdhsa_user_sgpr_kernarg_preload_length 0
		.amdhsa_user_sgpr_kernarg_preload_offset 0
		.amdhsa_user_sgpr_private_segment_size 0
		.amdhsa_uses_dynamic_stack 0
		.amdhsa_system_sgpr_private_segment_wavefront_offset 0
		.amdhsa_system_sgpr_workgroup_id_x 1
		.amdhsa_system_sgpr_workgroup_id_y 0
		.amdhsa_system_sgpr_workgroup_id_z 0
		.amdhsa_system_sgpr_workgroup_info 0
		.amdhsa_system_vgpr_workitem_id 0
		.amdhsa_next_free_vgpr 19
		.amdhsa_next_free_sgpr 44
		.amdhsa_accum_offset 20
		.amdhsa_reserve_vcc 1
		.amdhsa_reserve_flat_scratch 0
		.amdhsa_float_round_mode_32 0
		.amdhsa_float_round_mode_16_64 0
		.amdhsa_float_denorm_mode_32 3
		.amdhsa_float_denorm_mode_16_64 3
		.amdhsa_dx10_clamp 1
		.amdhsa_ieee_mode 1
		.amdhsa_fp16_overflow 0
		.amdhsa_tg_split 0
		.amdhsa_exception_fp_ieee_invalid_op 0
		.amdhsa_exception_fp_denorm_src 0
		.amdhsa_exception_fp_ieee_div_zero 0
		.amdhsa_exception_fp_ieee_overflow 0
		.amdhsa_exception_fp_ieee_underflow 0
		.amdhsa_exception_fp_ieee_inexact 0
		.amdhsa_exception_int_div_zero 0
	.end_amdhsa_kernel
	.section	.text._ZN9rocsparseL22bsrxmvn_general_kernelILj256ELj16EfllfffEEv20rocsparse_direction_NS_24const_host_device_scalarIT1_EET3_PKS5_PKT2_SA_S7_PKT4_S5_PKT5_S4_PT6_21rocsparse_index_base_b,"axG",@progbits,_ZN9rocsparseL22bsrxmvn_general_kernelILj256ELj16EfllfffEEv20rocsparse_direction_NS_24const_host_device_scalarIT1_EET3_PKS5_PKT2_SA_S7_PKT4_S5_PKT5_S4_PT6_21rocsparse_index_base_b,comdat
.Lfunc_end25:
	.size	_ZN9rocsparseL22bsrxmvn_general_kernelILj256ELj16EfllfffEEv20rocsparse_direction_NS_24const_host_device_scalarIT1_EET3_PKS5_PKT2_SA_S7_PKT4_S5_PKT5_S4_PT6_21rocsparse_index_base_b, .Lfunc_end25-_ZN9rocsparseL22bsrxmvn_general_kernelILj256ELj16EfllfffEEv20rocsparse_direction_NS_24const_host_device_scalarIT1_EET3_PKS5_PKT2_SA_S7_PKT4_S5_PKT5_S4_PT6_21rocsparse_index_base_b
                                        ; -- End function
	.section	.AMDGPU.csdata,"",@progbits
; Kernel info:
; codeLenInByte = 1060
; NumSgprs: 48
; NumVgprs: 19
; NumAgprs: 0
; TotalNumVgprs: 19
; ScratchSize: 0
; MemoryBound: 0
; FloatMode: 240
; IeeeMode: 1
; LDSByteSize: 0 bytes/workgroup (compile time only)
; SGPRBlocks: 5
; VGPRBlocks: 2
; NumSGPRsForWavesPerEU: 48
; NumVGPRsForWavesPerEU: 19
; AccumOffset: 20
; Occupancy: 8
; WaveLimiterHint : 0
; COMPUTE_PGM_RSRC2:SCRATCH_EN: 0
; COMPUTE_PGM_RSRC2:USER_SGPR: 6
; COMPUTE_PGM_RSRC2:TRAP_HANDLER: 0
; COMPUTE_PGM_RSRC2:TGID_X_EN: 1
; COMPUTE_PGM_RSRC2:TGID_Y_EN: 0
; COMPUTE_PGM_RSRC2:TGID_Z_EN: 0
; COMPUTE_PGM_RSRC2:TIDIG_COMP_CNT: 0
; COMPUTE_PGM_RSRC3_GFX90A:ACCUM_OFFSET: 4
; COMPUTE_PGM_RSRC3_GFX90A:TG_SPLIT: 0
	.section	.text._ZN9rocsparseL22bsrxmvn_general_kernelILj1024ELj32EfllfffEEv20rocsparse_direction_NS_24const_host_device_scalarIT1_EET3_PKS5_PKT2_SA_S7_PKT4_S5_PKT5_S4_PT6_21rocsparse_index_base_b,"axG",@progbits,_ZN9rocsparseL22bsrxmvn_general_kernelILj1024ELj32EfllfffEEv20rocsparse_direction_NS_24const_host_device_scalarIT1_EET3_PKS5_PKT2_SA_S7_PKT4_S5_PKT5_S4_PT6_21rocsparse_index_base_b,comdat
	.globl	_ZN9rocsparseL22bsrxmvn_general_kernelILj1024ELj32EfllfffEEv20rocsparse_direction_NS_24const_host_device_scalarIT1_EET3_PKS5_PKT2_SA_S7_PKT4_S5_PKT5_S4_PT6_21rocsparse_index_base_b ; -- Begin function _ZN9rocsparseL22bsrxmvn_general_kernelILj1024ELj32EfllfffEEv20rocsparse_direction_NS_24const_host_device_scalarIT1_EET3_PKS5_PKT2_SA_S7_PKT4_S5_PKT5_S4_PT6_21rocsparse_index_base_b
	.p2align	8
	.type	_ZN9rocsparseL22bsrxmvn_general_kernelILj1024ELj32EfllfffEEv20rocsparse_direction_NS_24const_host_device_scalarIT1_EET3_PKS5_PKT2_SA_S7_PKT4_S5_PKT5_S4_PT6_21rocsparse_index_base_b,@function
_ZN9rocsparseL22bsrxmvn_general_kernelILj1024ELj32EfllfffEEv20rocsparse_direction_NS_24const_host_device_scalarIT1_EET3_PKS5_PKT2_SA_S7_PKT4_S5_PKT5_S4_PT6_21rocsparse_index_base_b: ; @_ZN9rocsparseL22bsrxmvn_general_kernelILj1024ELj32EfllfffEEv20rocsparse_direction_NS_24const_host_device_scalarIT1_EET3_PKS5_PKT2_SA_S7_PKT4_S5_PKT5_S4_PT6_21rocsparse_index_base_b
; %bb.0:
	s_load_dwordx2 s[16:17], s[4:5], 0x60
	s_load_dwordx2 s[18:19], s[4:5], 0x8
	;; [unrolled: 1-line block ×3, first 2 shown]
	s_waitcnt lgkmcnt(0)
	s_bitcmp1_b32 s17, 0
	s_cselect_b64 s[2:3], -1, 0
	s_xor_b64 s[0:1], s[2:3], -1
	s_and_b64 vcc, exec, s[2:3]
	s_cbranch_vccnz .LBB26_2
; %bb.1:
	s_load_dword s18, s[18:19], 0x0
.LBB26_2:
	s_andn2_b64 vcc, exec, s[0:1]
	s_cbranch_vccnz .LBB26_4
; %bb.3:
	s_load_dword s20, s[20:21], 0x0
.LBB26_4:
	s_waitcnt lgkmcnt(0)
	v_cmp_neq_f32_e64 s[0:1], s18, 0
	v_cmp_neq_f32_e64 s[2:3], s20, 1.0
	s_or_b64 s[0:1], s[0:1], s[2:3]
	s_andn2_b64 vcc, exec, s[0:1]
	s_mov_b32 s7, 0
	s_cbranch_vccnz .LBB26_26
; %bb.5:
	s_load_dwordx2 s[0:1], s[4:5], 0x18
	s_waitcnt lgkmcnt(0)
	s_cmp_eq_u64 s[0:1], 0
	s_cbranch_scc1 .LBB26_7
; %bb.6:
	s_lshl_b64 s[2:3], s[6:7], 3
	s_add_u32 s0, s0, s2
	s_addc_u32 s1, s1, s3
	s_load_dwordx2 s[0:1], s[0:1], 0x0
	s_waitcnt lgkmcnt(0)
	s_sub_u32 s6, s0, s16
	s_subb_u32 s7, s1, 0
.LBB26_7:
	s_load_dwordx2 s[22:23], s[4:5], 0x40
	v_lshrrev_b32_e32 v2, 5, v0
	v_mov_b32_e32 v3, 0
	s_waitcnt lgkmcnt(0)
	v_cmp_gt_i64_e32 vcc, s[22:23], v[2:3]
	s_and_saveexec_b64 s[0:1], vcc
	s_cbranch_execz .LBB26_26
; %bb.8:
	s_load_dwordx8 s[8:15], s[4:5], 0x20
	s_lshl_b64 s[0:1], s[6:7], 3
	v_and_b32_e32 v0, 31, v0
	v_lshlrev_b32_e32 v4, 2, v0
	v_mov_b32_e32 v1, v3
	s_waitcnt lgkmcnt(0)
	s_add_u32 s2, s8, s0
	s_addc_u32 s3, s9, s1
	s_load_dwordx2 s[36:37], s[2:3], 0x0
	s_load_dwordx2 s[30:31], s[4:5], 0x58
	;; [unrolled: 1-line block ×3, first 2 shown]
	s_mov_b64 s[8:9], 0
	s_mul_i32 s33, s22, s22
	s_waitcnt lgkmcnt(0)
	s_sub_u32 s24, s36, s16
	s_subb_u32 s25, s37, 0
	s_add_u32 s2, s2, 8
	s_addc_u32 s3, s3, 0
	s_add_u32 s0, s10, s0
	s_addc_u32 s1, s11, s1
	s_cmp_eq_u64 s[10:11], 0
	s_cselect_b32 s1, s3, s1
	s_cselect_b32 s0, s2, s0
	s_load_dwordx2 s[28:29], s[0:1], 0x0
	s_load_dword s17, s[4:5], 0x0
	s_mul_i32 s4, s6, s23
	s_mul_hi_u32 s5, s6, s22
	v_mov_b32_e32 v6, s24
	s_waitcnt lgkmcnt(0)
	s_sub_u32 s26, s28, s16
	s_subb_u32 s27, s29, 0
	s_cmp_lg_u32 s17, 0
	v_pk_mov_b32 v[8:9], s[28:29], s[28:29] op_sel:[0,1]
	s_cselect_b64 s[28:29], -1, 0
	s_add_i32 s4, s5, s4
	s_mul_i32 s5, s7, s22
	s_add_i32 s5, s4, s5
	s_mul_i32 s4, s6, s22
	s_lshl_b64 s[4:5], s[4:5], 2
	s_add_u32 s17, s30, s4
	s_addc_u32 s19, s31, s5
	s_mul_i32 s4, s23, s24
	s_mul_i32 s5, s22, s25
	s_add_i32 s6, s5, s4
	v_mad_u64_u32 v[6:7], s[4:5], s22, v6, v[2:3]
	v_mov_b32_e32 v5, s35
	v_add_co_u32_e32 v4, vcc, s34, v4
	v_add_u32_e32 v7, s6, v7
	v_addc_co_u32_e32 v5, vcc, 0, v5, vcc
	v_mul_lo_u32 v10, s22, v7
	v_mul_lo_u32 v11, s23, v6
	v_mad_u64_u32 v[6:7], s[4:5], s22, v6, 0
	s_mul_i32 s4, s22, s23
	s_mul_hi_u32 s5, s22, s22
	v_cmp_lt_i64_e32 vcc, s[36:37], v[8:9]
	s_add_i32 s5, s5, s4
	v_cndmask_b32_e64 v8, 0, 1, vcc
	v_cmp_eq_f32_e64 s[10:11], s20, 0
	v_cmp_gt_u64_e64 s[0:1], s[22:23], v[0:1]
	v_cmp_eq_u32_e64 s[2:3], 31, v0
	s_lshl_b64 s[30:31], s[22:23], 2
	v_add3_u32 v7, v7, v10, v11
	s_lshl_b64 s[34:35], s[22:23], 5
	s_add_i32 s21, s5, s4
	v_cmp_ne_u32_e64 s[4:5], 1, v8
	s_branch .LBB26_10
.LBB26_9:                               ;   in Loop: Header=BB26_10 Depth=1
	s_or_b64 exec, exec, s[6:7]
	v_add_co_u32_e32 v2, vcc, 32, v2
	v_addc_co_u32_e32 v3, vcc, 0, v3, vcc
	v_cmp_le_i64_e32 vcc, s[22:23], v[2:3]
	v_mov_b32_e32 v8, s35
	s_or_b64 s[8:9], vcc, s[8:9]
	v_add_co_u32_e32 v6, vcc, s34, v6
	v_addc_co_u32_e32 v7, vcc, v7, v8, vcc
	s_andn2_b64 exec, exec, s[8:9]
	s_cbranch_execz .LBB26_26
.LBB26_10:                              ; =>This Loop Header: Depth=1
                                        ;     Child Loop BB26_14 Depth 2
                                        ;       Child Loop BB26_17 Depth 3
	s_and_b64 vcc, exec, s[4:5]
	v_mov_b32_e32 v16, 0
	s_cbranch_vccnz .LBB26_21
; %bb.11:                               ;   in Loop: Header=BB26_10 Depth=1
	v_mov_b32_e32 v16, 0
	v_pk_mov_b32 v[8:9], v[6:7], v[6:7] op_sel:[0,1]
	s_mov_b64 s[36:37], s[24:25]
	s_branch .LBB26_14
.LBB26_12:                              ;   in Loop: Header=BB26_14 Depth=2
	s_or_b64 exec, exec, s[40:41]
.LBB26_13:                              ;   in Loop: Header=BB26_14 Depth=2
	s_or_b64 exec, exec, s[38:39]
	s_add_u32 s36, s36, 1
	v_mov_b32_e32 v10, s21
	v_add_co_u32_e32 v8, vcc, s33, v8
	s_addc_u32 s37, s37, 0
	v_addc_co_u32_e32 v9, vcc, v9, v10, vcc
	v_pk_mov_b32 v[10:11], s[26:27], s[26:27] op_sel:[0,1]
	v_cmp_ge_i64_e32 vcc, s[36:37], v[10:11]
	s_cbranch_vccnz .LBB26_21
.LBB26_14:                              ;   Parent Loop BB26_10 Depth=1
                                        ; =>  This Loop Header: Depth=2
                                        ;       Child Loop BB26_17 Depth 3
	s_and_saveexec_b64 s[38:39], s[0:1]
	s_cbranch_execz .LBB26_13
; %bb.15:                               ;   in Loop: Header=BB26_14 Depth=2
	s_lshl_b64 s[6:7], s[36:37], 3
	s_add_u32 s6, s12, s6
	s_addc_u32 s7, s13, s7
	s_load_dwordx2 s[6:7], s[6:7], 0x0
	s_mul_i32 s40, s36, s23
	s_mul_hi_u32 s41, s36, s22
	s_mul_i32 s42, s37, s22
	s_mul_i32 s43, s36, s22
	s_waitcnt lgkmcnt(0)
	s_sub_u32 s6, s6, s16
	s_subb_u32 s7, s7, 0
	s_add_i32 s40, s41, s40
	s_add_i32 s42, s40, s42
	s_mul_i32 s40, s31, s6
	s_mul_i32 s7, s30, s7
	v_mov_b32_e32 v10, s6
	s_add_i32 s40, s7, s40
	v_mad_u64_u32 v[10:11], s[6:7], s30, v10, v[4:5]
	v_add_u32_e32 v11, s40, v11
	s_mov_b64 s[40:41], 0
	v_pk_mov_b32 v[12:13], v[0:1], v[0:1] op_sel:[0,1]
	s_branch .LBB26_17
.LBB26_16:                              ;   in Loop: Header=BB26_17 Depth=3
	v_lshlrev_b64 v[14:15], 2, v[14:15]
	v_mov_b32_e32 v17, s15
	v_add_co_u32_e32 v14, vcc, s14, v14
	v_addc_co_u32_e32 v15, vcc, v17, v15, vcc
	global_load_dword v17, v[10:11], off
	global_load_dword v18, v[14:15], off
	v_add_co_u32_e32 v12, vcc, 32, v12
	v_addc_co_u32_e32 v13, vcc, 0, v13, vcc
	v_add_co_u32_e32 v10, vcc, 0x80, v10
	v_cmp_le_i64_e64 s[6:7], s[22:23], v[12:13]
	s_or_b64 s[40:41], s[6:7], s[40:41]
	v_addc_co_u32_e32 v11, vcc, 0, v11, vcc
	s_waitcnt vmcnt(0)
	v_fmac_f32_e32 v16, v18, v17
	s_andn2_b64 exec, exec, s[40:41]
	s_cbranch_execz .LBB26_12
.LBB26_17:                              ;   Parent Loop BB26_10 Depth=1
                                        ;     Parent Loop BB26_14 Depth=2
                                        ; =>    This Inner Loop Header: Depth=3
	s_and_b64 vcc, exec, s[28:29]
	s_cbranch_vccz .LBB26_19
; %bb.18:                               ;   in Loop: Header=BB26_17 Depth=3
	v_mov_b32_e32 v14, s42
	v_add_co_u32_e32 v15, vcc, s43, v12
	v_addc_co_u32_e32 v14, vcc, v13, v14, vcc
	v_mul_lo_u32 v17, v15, s23
	v_mul_lo_u32 v18, v14, s22
	v_mad_u64_u32 v[14:15], s[6:7], v15, s22, v[2:3]
	v_add3_u32 v15, v18, v15, v17
	s_cbranch_execnz .LBB26_16
	s_branch .LBB26_20
.LBB26_19:                              ;   in Loop: Header=BB26_17 Depth=3
                                        ; implicit-def: $vgpr14_vgpr15
.LBB26_20:                              ;   in Loop: Header=BB26_17 Depth=3
	v_add_co_u32_e32 v14, vcc, v8, v12
	v_addc_co_u32_e32 v15, vcc, v9, v13, vcc
	s_branch .LBB26_16
.LBB26_21:                              ;   in Loop: Header=BB26_10 Depth=1
	s_nop 0
	v_mov_b32_dpp v8, v16 row_shr:1 row_mask:0xf bank_mask:0xf
	v_add_f32_e32 v8, v16, v8
	s_nop 1
	v_mov_b32_dpp v9, v8 row_shr:2 row_mask:0xf bank_mask:0xf
	v_add_f32_e32 v8, v8, v9
	;; [unrolled: 3-line block ×4, first 2 shown]
	s_nop 1
	v_mov_b32_dpp v9, v8 row_bcast:15 row_mask:0xa bank_mask:0xf
	s_and_saveexec_b64 s[6:7], s[2:3]
	s_cbranch_execz .LBB26_9
; %bb.22:                               ;   in Loop: Header=BB26_10 Depth=1
	v_add_f32_e32 v8, v8, v9
	s_and_b64 vcc, exec, s[10:11]
	v_mul_f32_e32 v10, s18, v8
	v_lshlrev_b64 v[8:9], 2, v[2:3]
	s_cbranch_vccz .LBB26_24
; %bb.23:                               ;   in Loop: Header=BB26_10 Depth=1
	v_mov_b32_e32 v11, s19
	v_add_co_u32_e32 v12, vcc, s17, v8
	v_addc_co_u32_e32 v13, vcc, v11, v9, vcc
	global_store_dword v[12:13], v10, off
	s_cbranch_execnz .LBB26_9
	s_branch .LBB26_25
.LBB26_24:                              ;   in Loop: Header=BB26_10 Depth=1
.LBB26_25:                              ;   in Loop: Header=BB26_10 Depth=1
	v_mov_b32_e32 v11, s19
	v_add_co_u32_e32 v8, vcc, s17, v8
	v_addc_co_u32_e32 v9, vcc, v11, v9, vcc
	global_load_dword v11, v[8:9], off
	s_waitcnt vmcnt(0)
	v_fmac_f32_e32 v10, s20, v11
	global_store_dword v[8:9], v10, off
	s_branch .LBB26_9
.LBB26_26:
	s_endpgm
	.section	.rodata,"a",@progbits
	.p2align	6, 0x0
	.amdhsa_kernel _ZN9rocsparseL22bsrxmvn_general_kernelILj1024ELj32EfllfffEEv20rocsparse_direction_NS_24const_host_device_scalarIT1_EET3_PKS5_PKT2_SA_S7_PKT4_S5_PKT5_S4_PT6_21rocsparse_index_base_b
		.amdhsa_group_segment_fixed_size 0
		.amdhsa_private_segment_fixed_size 0
		.amdhsa_kernarg_size 104
		.amdhsa_user_sgpr_count 6
		.amdhsa_user_sgpr_private_segment_buffer 1
		.amdhsa_user_sgpr_dispatch_ptr 0
		.amdhsa_user_sgpr_queue_ptr 0
		.amdhsa_user_sgpr_kernarg_segment_ptr 1
		.amdhsa_user_sgpr_dispatch_id 0
		.amdhsa_user_sgpr_flat_scratch_init 0
		.amdhsa_user_sgpr_kernarg_preload_length 0
		.amdhsa_user_sgpr_kernarg_preload_offset 0
		.amdhsa_user_sgpr_private_segment_size 0
		.amdhsa_uses_dynamic_stack 0
		.amdhsa_system_sgpr_private_segment_wavefront_offset 0
		.amdhsa_system_sgpr_workgroup_id_x 1
		.amdhsa_system_sgpr_workgroup_id_y 0
		.amdhsa_system_sgpr_workgroup_id_z 0
		.amdhsa_system_sgpr_workgroup_info 0
		.amdhsa_system_vgpr_workitem_id 0
		.amdhsa_next_free_vgpr 19
		.amdhsa_next_free_sgpr 44
		.amdhsa_accum_offset 20
		.amdhsa_reserve_vcc 1
		.amdhsa_reserve_flat_scratch 0
		.amdhsa_float_round_mode_32 0
		.amdhsa_float_round_mode_16_64 0
		.amdhsa_float_denorm_mode_32 3
		.amdhsa_float_denorm_mode_16_64 3
		.amdhsa_dx10_clamp 1
		.amdhsa_ieee_mode 1
		.amdhsa_fp16_overflow 0
		.amdhsa_tg_split 0
		.amdhsa_exception_fp_ieee_invalid_op 0
		.amdhsa_exception_fp_denorm_src 0
		.amdhsa_exception_fp_ieee_div_zero 0
		.amdhsa_exception_fp_ieee_overflow 0
		.amdhsa_exception_fp_ieee_underflow 0
		.amdhsa_exception_fp_ieee_inexact 0
		.amdhsa_exception_int_div_zero 0
	.end_amdhsa_kernel
	.section	.text._ZN9rocsparseL22bsrxmvn_general_kernelILj1024ELj32EfllfffEEv20rocsparse_direction_NS_24const_host_device_scalarIT1_EET3_PKS5_PKT2_SA_S7_PKT4_S5_PKT5_S4_PT6_21rocsparse_index_base_b,"axG",@progbits,_ZN9rocsparseL22bsrxmvn_general_kernelILj1024ELj32EfllfffEEv20rocsparse_direction_NS_24const_host_device_scalarIT1_EET3_PKS5_PKT2_SA_S7_PKT4_S5_PKT5_S4_PT6_21rocsparse_index_base_b,comdat
.Lfunc_end26:
	.size	_ZN9rocsparseL22bsrxmvn_general_kernelILj1024ELj32EfllfffEEv20rocsparse_direction_NS_24const_host_device_scalarIT1_EET3_PKS5_PKT2_SA_S7_PKT4_S5_PKT5_S4_PT6_21rocsparse_index_base_b, .Lfunc_end26-_ZN9rocsparseL22bsrxmvn_general_kernelILj1024ELj32EfllfffEEv20rocsparse_direction_NS_24const_host_device_scalarIT1_EET3_PKS5_PKT2_SA_S7_PKT4_S5_PKT5_S4_PT6_21rocsparse_index_base_b
                                        ; -- End function
	.section	.AMDGPU.csdata,"",@progbits
; Kernel info:
; codeLenInByte = 1084
; NumSgprs: 48
; NumVgprs: 19
; NumAgprs: 0
; TotalNumVgprs: 19
; ScratchSize: 0
; MemoryBound: 0
; FloatMode: 240
; IeeeMode: 1
; LDSByteSize: 0 bytes/workgroup (compile time only)
; SGPRBlocks: 5
; VGPRBlocks: 2
; NumSGPRsForWavesPerEU: 48
; NumVGPRsForWavesPerEU: 19
; AccumOffset: 20
; Occupancy: 8
; WaveLimiterHint : 0
; COMPUTE_PGM_RSRC2:SCRATCH_EN: 0
; COMPUTE_PGM_RSRC2:USER_SGPR: 6
; COMPUTE_PGM_RSRC2:TRAP_HANDLER: 0
; COMPUTE_PGM_RSRC2:TGID_X_EN: 1
; COMPUTE_PGM_RSRC2:TGID_Y_EN: 0
; COMPUTE_PGM_RSRC2:TGID_Z_EN: 0
; COMPUTE_PGM_RSRC2:TIDIG_COMP_CNT: 0
; COMPUTE_PGM_RSRC3_GFX90A:ACCUM_OFFSET: 4
; COMPUTE_PGM_RSRC3_GFX90A:TG_SPLIT: 0
	.section	.text._ZN9rocsparseL22bsrxmvn_general_kernelILj64ELj8EdlldddEEv20rocsparse_direction_NS_24const_host_device_scalarIT1_EET3_PKS5_PKT2_SA_S7_PKT4_S5_PKT5_S4_PT6_21rocsparse_index_base_b,"axG",@progbits,_ZN9rocsparseL22bsrxmvn_general_kernelILj64ELj8EdlldddEEv20rocsparse_direction_NS_24const_host_device_scalarIT1_EET3_PKS5_PKT2_SA_S7_PKT4_S5_PKT5_S4_PT6_21rocsparse_index_base_b,comdat
	.globl	_ZN9rocsparseL22bsrxmvn_general_kernelILj64ELj8EdlldddEEv20rocsparse_direction_NS_24const_host_device_scalarIT1_EET3_PKS5_PKT2_SA_S7_PKT4_S5_PKT5_S4_PT6_21rocsparse_index_base_b ; -- Begin function _ZN9rocsparseL22bsrxmvn_general_kernelILj64ELj8EdlldddEEv20rocsparse_direction_NS_24const_host_device_scalarIT1_EET3_PKS5_PKT2_SA_S7_PKT4_S5_PKT5_S4_PT6_21rocsparse_index_base_b
	.p2align	8
	.type	_ZN9rocsparseL22bsrxmvn_general_kernelILj64ELj8EdlldddEEv20rocsparse_direction_NS_24const_host_device_scalarIT1_EET3_PKS5_PKT2_SA_S7_PKT4_S5_PKT5_S4_PT6_21rocsparse_index_base_b,@function
_ZN9rocsparseL22bsrxmvn_general_kernelILj64ELj8EdlldddEEv20rocsparse_direction_NS_24const_host_device_scalarIT1_EET3_PKS5_PKT2_SA_S7_PKT4_S5_PKT5_S4_PT6_21rocsparse_index_base_b: ; @_ZN9rocsparseL22bsrxmvn_general_kernelILj64ELj8EdlldddEEv20rocsparse_direction_NS_24const_host_device_scalarIT1_EET3_PKS5_PKT2_SA_S7_PKT4_S5_PKT5_S4_PT6_21rocsparse_index_base_b
; %bb.0:
	s_load_dwordx2 s[16:17], s[4:5], 0x60
	s_load_dwordx2 s[8:9], s[4:5], 0x8
	;; [unrolled: 1-line block ×3, first 2 shown]
	s_waitcnt lgkmcnt(0)
	s_bitcmp1_b32 s17, 0
	s_cselect_b64 s[10:11], -1, 0
	s_xor_b64 s[2:3], s[10:11], -1
	s_and_b64 vcc, exec, s[10:11]
	v_pk_mov_b32 v[2:3], s[8:9], s[8:9] op_sel:[0,1]
	s_cbranch_vccnz .LBB27_2
; %bb.1:
	v_pk_mov_b32 v[2:3], s[8:9], s[8:9] op_sel:[0,1]
	flat_load_dwordx2 v[2:3], v[2:3]
.LBB27_2:
	s_andn2_b64 vcc, exec, s[2:3]
	v_pk_mov_b32 v[4:5], s[0:1], s[0:1] op_sel:[0,1]
	s_cbranch_vccnz .LBB27_4
; %bb.3:
	v_pk_mov_b32 v[4:5], s[0:1], s[0:1] op_sel:[0,1]
	flat_load_dwordx2 v[4:5], v[4:5]
.LBB27_4:
	s_waitcnt vmcnt(0) lgkmcnt(0)
	v_cmp_neq_f64_e32 vcc, 0, v[2:3]
	v_cmp_neq_f64_e64 s[0:1], 1.0, v[4:5]
	s_or_b64 s[0:1], vcc, s[0:1]
	s_and_saveexec_b64 s[2:3], s[0:1]
	s_cbranch_execz .LBB27_26
; %bb.5:
	s_load_dwordx2 s[0:1], s[4:5], 0x18
	s_mov_b32 s7, 0
	s_waitcnt lgkmcnt(0)
	s_cmp_eq_u64 s[0:1], 0
	s_cbranch_scc1 .LBB27_7
; %bb.6:
	s_lshl_b64 s[2:3], s[6:7], 3
	s_add_u32 s0, s0, s2
	s_addc_u32 s1, s1, s3
	s_load_dwordx2 s[0:1], s[0:1], 0x0
	s_waitcnt lgkmcnt(0)
	s_sub_u32 s6, s0, s16
	s_subb_u32 s7, s1, 0
.LBB27_7:
	s_load_dwordx2 s[18:19], s[4:5], 0x40
	v_lshrrev_b32_e32 v6, 3, v0
	v_mov_b32_e32 v7, 0
	s_waitcnt lgkmcnt(0)
	v_cmp_gt_i64_e32 vcc, s[18:19], v[6:7]
	s_and_b64 exec, exec, vcc
	s_cbranch_execz .LBB27_26
; %bb.8:
	s_load_dwordx8 s[8:15], s[4:5], 0x20
	s_lshl_b64 s[0:1], s[6:7], 3
	s_mul_hi_u32 s30, s6, s18
	s_mul_i32 s7, s7, s18
	v_and_b32_e32 v0, 7, v0
	s_waitcnt lgkmcnt(0)
	s_add_u32 s2, s8, s0
	s_addc_u32 s3, s9, s1
	s_load_dwordx2 s[26:27], s[2:3], 0x0
	s_load_dwordx2 s[24:25], s[4:5], 0x58
	;; [unrolled: 1-line block ×3, first 2 shown]
	v_lshlrev_b32_e32 v8, 3, v0
	v_mov_b32_e32 v1, v7
	s_waitcnt lgkmcnt(0)
	s_sub_u32 s20, s26, s16
	s_subb_u32 s21, s27, 0
	s_add_u32 s2, s2, 8
	s_addc_u32 s3, s3, 0
	s_add_u32 s0, s10, s0
	s_addc_u32 s1, s11, s1
	s_cmp_eq_u64 s[10:11], 0
	s_cselect_b32 s1, s3, s1
	s_cselect_b32 s0, s2, s0
	s_load_dwordx2 s[22:23], s[0:1], 0x0
	s_load_dword s17, s[4:5], 0x0
	v_mov_b32_e32 v10, s20
	v_add_co_u32_e32 v8, vcc, s28, v8
	s_waitcnt lgkmcnt(0)
	s_sub_u32 s10, s22, s16
	s_subb_u32 s11, s23, 0
	s_cmp_lg_u32 s17, 0
	s_mul_i32 s17, s6, s19
	v_pk_mov_b32 v[12:13], s[22:23], s[22:23] op_sel:[0,1]
	s_cselect_b64 s[22:23], -1, 0
	s_add_i32 s17, s30, s17
	s_add_i32 s7, s17, s7
	s_mul_i32 s6, s6, s18
	s_lshl_b64 s[6:7], s[6:7], 3
	s_add_u32 s17, s24, s6
	s_addc_u32 s33, s25, s7
	s_mul_i32 s6, s19, s20
	s_mul_i32 s7, s18, s21
	s_add_i32 s28, s7, s6
	v_mad_u64_u32 v[10:11], s[6:7], s18, v10, v[6:7]
	v_mov_b32_e32 v9, s29
	v_add_u32_e32 v11, s28, v11
	v_addc_co_u32_e32 v9, vcc, 0, v9, vcc
	v_mul_lo_u32 v14, s18, v11
	v_mul_lo_u32 v15, s19, v10
	v_mad_u64_u32 v[10:11], s[6:7], s18, v10, 0
	s_mul_i32 s6, s18, s19
	s_mul_hi_u32 s7, s18, s18
	v_cmp_lt_i64_e32 vcc, s[26:27], v[12:13]
	s_add_i32 s7, s7, s6
	v_cndmask_b32_e64 v12, 0, 1, vcc
	s_mov_b64 s[8:9], 0
	v_cmp_eq_f64_e64 s[0:1], 0, v[4:5]
	v_cmp_gt_u64_e64 s[2:3], s[18:19], v[0:1]
	v_cmp_eq_u32_e64 s[4:5], 7, v0
	s_lshl_b64 s[24:25], s[18:19], 3
	v_add3_u32 v11, v11, v14, v15
	s_add_i32 s36, s7, s6
	s_mul_i32 s37, s18, s18
	v_cmp_ne_u32_e64 s[6:7], 1, v12
	s_branch .LBB27_10
.LBB27_9:                               ;   in Loop: Header=BB27_10 Depth=1
	s_or_b64 exec, exec, s[26:27]
	v_add_co_u32_e32 v6, vcc, 8, v6
	v_addc_co_u32_e32 v7, vcc, 0, v7, vcc
	v_cmp_le_i64_e32 vcc, s[18:19], v[6:7]
	v_mov_b32_e32 v12, s25
	s_or_b64 s[8:9], vcc, s[8:9]
	v_add_co_u32_e32 v10, vcc, s24, v10
	v_addc_co_u32_e32 v11, vcc, v11, v12, vcc
	s_andn2_b64 exec, exec, s[8:9]
	s_cbranch_execz .LBB27_26
.LBB27_10:                              ; =>This Loop Header: Depth=1
                                        ;     Child Loop BB27_14 Depth 2
                                        ;       Child Loop BB27_17 Depth 3
	s_and_b64 vcc, exec, s[6:7]
	v_pk_mov_b32 v[12:13], 0, 0
	s_cbranch_vccnz .LBB27_21
; %bb.11:                               ;   in Loop: Header=BB27_10 Depth=1
	v_pk_mov_b32 v[12:13], 0, 0
	v_pk_mov_b32 v[14:15], v[10:11], v[10:11] op_sel:[0,1]
	s_mov_b64 s[26:27], s[20:21]
	s_branch .LBB27_14
.LBB27_12:                              ;   in Loop: Header=BB27_14 Depth=2
	s_or_b64 exec, exec, s[30:31]
.LBB27_13:                              ;   in Loop: Header=BB27_14 Depth=2
	s_or_b64 exec, exec, s[28:29]
	s_add_u32 s26, s26, 1
	v_mov_b32_e32 v16, s36
	v_add_co_u32_e32 v14, vcc, s37, v14
	s_addc_u32 s27, s27, 0
	v_addc_co_u32_e32 v15, vcc, v15, v16, vcc
	v_pk_mov_b32 v[16:17], s[10:11], s[10:11] op_sel:[0,1]
	v_cmp_ge_i64_e32 vcc, s[26:27], v[16:17]
	s_cbranch_vccnz .LBB27_21
.LBB27_14:                              ;   Parent Loop BB27_10 Depth=1
                                        ; =>  This Loop Header: Depth=2
                                        ;       Child Loop BB27_17 Depth 3
	s_and_saveexec_b64 s[28:29], s[2:3]
	s_cbranch_execz .LBB27_13
; %bb.15:                               ;   in Loop: Header=BB27_14 Depth=2
	s_lshl_b64 s[30:31], s[26:27], 3
	s_add_u32 s30, s12, s30
	s_addc_u32 s31, s13, s31
	s_load_dwordx2 s[30:31], s[30:31], 0x0
	s_mul_i32 s34, s26, s19
	s_mul_hi_u32 s35, s26, s18
	s_mul_i32 s38, s27, s18
	s_mul_i32 s39, s26, s18
	s_waitcnt lgkmcnt(0)
	s_sub_u32 s30, s30, s16
	s_subb_u32 s31, s31, 0
	s_add_i32 s34, s35, s34
	s_add_i32 s38, s34, s38
	s_mul_i32 s34, s25, s30
	s_mul_i32 s31, s24, s31
	v_mov_b32_e32 v16, s30
	s_add_i32 s34, s31, s34
	v_mad_u64_u32 v[16:17], s[30:31], s24, v16, v[8:9]
	v_add_u32_e32 v17, s34, v17
	s_mov_b64 s[30:31], 0
	v_pk_mov_b32 v[18:19], v[0:1], v[0:1] op_sel:[0,1]
	s_branch .LBB27_17
.LBB27_16:                              ;   in Loop: Header=BB27_17 Depth=3
	v_lshlrev_b64 v[20:21], 3, v[20:21]
	v_mov_b32_e32 v22, s15
	v_add_co_u32_e32 v20, vcc, s14, v20
	v_addc_co_u32_e32 v21, vcc, v22, v21, vcc
	global_load_dwordx2 v[22:23], v[16:17], off
	global_load_dwordx2 v[24:25], v[20:21], off
	v_add_co_u32_e32 v18, vcc, 8, v18
	v_addc_co_u32_e32 v19, vcc, 0, v19, vcc
	v_cmp_le_i64_e32 vcc, s[18:19], v[18:19]
	s_or_b64 s[30:31], vcc, s[30:31]
	v_add_co_u32_e32 v16, vcc, 64, v16
	v_addc_co_u32_e32 v17, vcc, 0, v17, vcc
	s_waitcnt vmcnt(0)
	v_fmac_f64_e32 v[12:13], v[24:25], v[22:23]
	s_andn2_b64 exec, exec, s[30:31]
	s_cbranch_execz .LBB27_12
.LBB27_17:                              ;   Parent Loop BB27_10 Depth=1
                                        ;     Parent Loop BB27_14 Depth=2
                                        ; =>    This Inner Loop Header: Depth=3
	s_and_b64 vcc, exec, s[22:23]
	s_cbranch_vccz .LBB27_19
; %bb.18:                               ;   in Loop: Header=BB27_17 Depth=3
	v_mov_b32_e32 v20, s38
	v_add_co_u32_e32 v21, vcc, s39, v18
	v_addc_co_u32_e32 v20, vcc, v19, v20, vcc
	v_mul_lo_u32 v22, v21, s19
	v_mul_lo_u32 v23, v20, s18
	v_mad_u64_u32 v[20:21], s[34:35], v21, s18, v[6:7]
	v_add3_u32 v21, v23, v21, v22
	s_cbranch_execnz .LBB27_16
	s_branch .LBB27_20
.LBB27_19:                              ;   in Loop: Header=BB27_17 Depth=3
                                        ; implicit-def: $vgpr20_vgpr21
.LBB27_20:                              ;   in Loop: Header=BB27_17 Depth=3
	v_add_co_u32_e32 v20, vcc, v14, v18
	v_addc_co_u32_e32 v21, vcc, v15, v19, vcc
	s_branch .LBB27_16
.LBB27_21:                              ;   in Loop: Header=BB27_10 Depth=1
	s_nop 0
	v_mov_b32_dpp v14, v12 row_shr:1 row_mask:0xf bank_mask:0xf
	v_mov_b32_dpp v15, v13 row_shr:1 row_mask:0xf bank_mask:0xf
	v_add_f64 v[12:13], v[12:13], v[14:15]
	s_nop 1
	v_mov_b32_dpp v14, v12 row_shr:2 row_mask:0xf bank_mask:0xf
	v_mov_b32_dpp v15, v13 row_shr:2 row_mask:0xf bank_mask:0xf
	v_add_f64 v[12:13], v[12:13], v[14:15]
	s_nop 1
	v_mov_b32_dpp v14, v12 row_shr:4 row_mask:0xf bank_mask:0xe
	v_mov_b32_dpp v15, v13 row_shr:4 row_mask:0xf bank_mask:0xe
	s_and_saveexec_b64 s[26:27], s[4:5]
	s_cbranch_execz .LBB27_9
; %bb.22:                               ;   in Loop: Header=BB27_10 Depth=1
	v_add_f64 v[12:13], v[12:13], v[14:15]
	v_mul_f64 v[12:13], v[2:3], v[12:13]
	v_lshlrev_b64 v[14:15], 3, v[6:7]
	s_and_saveexec_b64 s[28:29], s[0:1]
	s_xor_b64 s[28:29], exec, s[28:29]
	s_cbranch_execz .LBB27_24
; %bb.23:                               ;   in Loop: Header=BB27_10 Depth=1
	v_mov_b32_e32 v16, s33
	v_add_co_u32_e32 v14, vcc, s17, v14
	v_addc_co_u32_e32 v15, vcc, v16, v15, vcc
	global_store_dwordx2 v[14:15], v[12:13], off
                                        ; implicit-def: $vgpr14_vgpr15
                                        ; implicit-def: $vgpr12_vgpr13
.LBB27_24:                              ;   in Loop: Header=BB27_10 Depth=1
	s_andn2_saveexec_b64 s[28:29], s[28:29]
	s_cbranch_execz .LBB27_9
; %bb.25:                               ;   in Loop: Header=BB27_10 Depth=1
	v_mov_b32_e32 v16, s33
	v_add_co_u32_e32 v14, vcc, s17, v14
	v_addc_co_u32_e32 v15, vcc, v16, v15, vcc
	global_load_dwordx2 v[16:17], v[14:15], off
	s_waitcnt vmcnt(0)
	v_fmac_f64_e32 v[12:13], v[4:5], v[16:17]
	global_store_dwordx2 v[14:15], v[12:13], off
	s_branch .LBB27_9
.LBB27_26:
	s_endpgm
	.section	.rodata,"a",@progbits
	.p2align	6, 0x0
	.amdhsa_kernel _ZN9rocsparseL22bsrxmvn_general_kernelILj64ELj8EdlldddEEv20rocsparse_direction_NS_24const_host_device_scalarIT1_EET3_PKS5_PKT2_SA_S7_PKT4_S5_PKT5_S4_PT6_21rocsparse_index_base_b
		.amdhsa_group_segment_fixed_size 0
		.amdhsa_private_segment_fixed_size 0
		.amdhsa_kernarg_size 104
		.amdhsa_user_sgpr_count 6
		.amdhsa_user_sgpr_private_segment_buffer 1
		.amdhsa_user_sgpr_dispatch_ptr 0
		.amdhsa_user_sgpr_queue_ptr 0
		.amdhsa_user_sgpr_kernarg_segment_ptr 1
		.amdhsa_user_sgpr_dispatch_id 0
		.amdhsa_user_sgpr_flat_scratch_init 0
		.amdhsa_user_sgpr_kernarg_preload_length 0
		.amdhsa_user_sgpr_kernarg_preload_offset 0
		.amdhsa_user_sgpr_private_segment_size 0
		.amdhsa_uses_dynamic_stack 0
		.amdhsa_system_sgpr_private_segment_wavefront_offset 0
		.amdhsa_system_sgpr_workgroup_id_x 1
		.amdhsa_system_sgpr_workgroup_id_y 0
		.amdhsa_system_sgpr_workgroup_id_z 0
		.amdhsa_system_sgpr_workgroup_info 0
		.amdhsa_system_vgpr_workitem_id 0
		.amdhsa_next_free_vgpr 26
		.amdhsa_next_free_sgpr 40
		.amdhsa_accum_offset 28
		.amdhsa_reserve_vcc 1
		.amdhsa_reserve_flat_scratch 0
		.amdhsa_float_round_mode_32 0
		.amdhsa_float_round_mode_16_64 0
		.amdhsa_float_denorm_mode_32 3
		.amdhsa_float_denorm_mode_16_64 3
		.amdhsa_dx10_clamp 1
		.amdhsa_ieee_mode 1
		.amdhsa_fp16_overflow 0
		.amdhsa_tg_split 0
		.amdhsa_exception_fp_ieee_invalid_op 0
		.amdhsa_exception_fp_denorm_src 0
		.amdhsa_exception_fp_ieee_div_zero 0
		.amdhsa_exception_fp_ieee_overflow 0
		.amdhsa_exception_fp_ieee_underflow 0
		.amdhsa_exception_fp_ieee_inexact 0
		.amdhsa_exception_int_div_zero 0
	.end_amdhsa_kernel
	.section	.text._ZN9rocsparseL22bsrxmvn_general_kernelILj64ELj8EdlldddEEv20rocsparse_direction_NS_24const_host_device_scalarIT1_EET3_PKS5_PKT2_SA_S7_PKT4_S5_PKT5_S4_PT6_21rocsparse_index_base_b,"axG",@progbits,_ZN9rocsparseL22bsrxmvn_general_kernelILj64ELj8EdlldddEEv20rocsparse_direction_NS_24const_host_device_scalarIT1_EET3_PKS5_PKT2_SA_S7_PKT4_S5_PKT5_S4_PT6_21rocsparse_index_base_b,comdat
.Lfunc_end27:
	.size	_ZN9rocsparseL22bsrxmvn_general_kernelILj64ELj8EdlldddEEv20rocsparse_direction_NS_24const_host_device_scalarIT1_EET3_PKS5_PKT2_SA_S7_PKT4_S5_PKT5_S4_PT6_21rocsparse_index_base_b, .Lfunc_end27-_ZN9rocsparseL22bsrxmvn_general_kernelILj64ELj8EdlldddEEv20rocsparse_direction_NS_24const_host_device_scalarIT1_EET3_PKS5_PKT2_SA_S7_PKT4_S5_PKT5_S4_PT6_21rocsparse_index_base_b
                                        ; -- End function
	.section	.AMDGPU.csdata,"",@progbits
; Kernel info:
; codeLenInByte = 1120
; NumSgprs: 44
; NumVgprs: 26
; NumAgprs: 0
; TotalNumVgprs: 26
; ScratchSize: 0
; MemoryBound: 0
; FloatMode: 240
; IeeeMode: 1
; LDSByteSize: 0 bytes/workgroup (compile time only)
; SGPRBlocks: 5
; VGPRBlocks: 3
; NumSGPRsForWavesPerEU: 44
; NumVGPRsForWavesPerEU: 26
; AccumOffset: 28
; Occupancy: 8
; WaveLimiterHint : 1
; COMPUTE_PGM_RSRC2:SCRATCH_EN: 0
; COMPUTE_PGM_RSRC2:USER_SGPR: 6
; COMPUTE_PGM_RSRC2:TRAP_HANDLER: 0
; COMPUTE_PGM_RSRC2:TGID_X_EN: 1
; COMPUTE_PGM_RSRC2:TGID_Y_EN: 0
; COMPUTE_PGM_RSRC2:TGID_Z_EN: 0
; COMPUTE_PGM_RSRC2:TIDIG_COMP_CNT: 0
; COMPUTE_PGM_RSRC3_GFX90A:ACCUM_OFFSET: 6
; COMPUTE_PGM_RSRC3_GFX90A:TG_SPLIT: 0
	.section	.text._ZN9rocsparseL22bsrxmvn_general_kernelILj256ELj16EdlldddEEv20rocsparse_direction_NS_24const_host_device_scalarIT1_EET3_PKS5_PKT2_SA_S7_PKT4_S5_PKT5_S4_PT6_21rocsparse_index_base_b,"axG",@progbits,_ZN9rocsparseL22bsrxmvn_general_kernelILj256ELj16EdlldddEEv20rocsparse_direction_NS_24const_host_device_scalarIT1_EET3_PKS5_PKT2_SA_S7_PKT4_S5_PKT5_S4_PT6_21rocsparse_index_base_b,comdat
	.globl	_ZN9rocsparseL22bsrxmvn_general_kernelILj256ELj16EdlldddEEv20rocsparse_direction_NS_24const_host_device_scalarIT1_EET3_PKS5_PKT2_SA_S7_PKT4_S5_PKT5_S4_PT6_21rocsparse_index_base_b ; -- Begin function _ZN9rocsparseL22bsrxmvn_general_kernelILj256ELj16EdlldddEEv20rocsparse_direction_NS_24const_host_device_scalarIT1_EET3_PKS5_PKT2_SA_S7_PKT4_S5_PKT5_S4_PT6_21rocsparse_index_base_b
	.p2align	8
	.type	_ZN9rocsparseL22bsrxmvn_general_kernelILj256ELj16EdlldddEEv20rocsparse_direction_NS_24const_host_device_scalarIT1_EET3_PKS5_PKT2_SA_S7_PKT4_S5_PKT5_S4_PT6_21rocsparse_index_base_b,@function
_ZN9rocsparseL22bsrxmvn_general_kernelILj256ELj16EdlldddEEv20rocsparse_direction_NS_24const_host_device_scalarIT1_EET3_PKS5_PKT2_SA_S7_PKT4_S5_PKT5_S4_PT6_21rocsparse_index_base_b: ; @_ZN9rocsparseL22bsrxmvn_general_kernelILj256ELj16EdlldddEEv20rocsparse_direction_NS_24const_host_device_scalarIT1_EET3_PKS5_PKT2_SA_S7_PKT4_S5_PKT5_S4_PT6_21rocsparse_index_base_b
; %bb.0:
	s_load_dwordx2 s[16:17], s[4:5], 0x60
	s_load_dwordx2 s[8:9], s[4:5], 0x8
	;; [unrolled: 1-line block ×3, first 2 shown]
	s_waitcnt lgkmcnt(0)
	s_bitcmp1_b32 s17, 0
	s_cselect_b64 s[10:11], -1, 0
	s_xor_b64 s[2:3], s[10:11], -1
	s_and_b64 vcc, exec, s[10:11]
	v_pk_mov_b32 v[2:3], s[8:9], s[8:9] op_sel:[0,1]
	s_cbranch_vccnz .LBB28_2
; %bb.1:
	v_pk_mov_b32 v[2:3], s[8:9], s[8:9] op_sel:[0,1]
	flat_load_dwordx2 v[2:3], v[2:3]
.LBB28_2:
	s_andn2_b64 vcc, exec, s[2:3]
	v_pk_mov_b32 v[4:5], s[0:1], s[0:1] op_sel:[0,1]
	s_cbranch_vccnz .LBB28_4
; %bb.3:
	v_pk_mov_b32 v[4:5], s[0:1], s[0:1] op_sel:[0,1]
	flat_load_dwordx2 v[4:5], v[4:5]
.LBB28_4:
	s_waitcnt vmcnt(0) lgkmcnt(0)
	v_cmp_neq_f64_e32 vcc, 0, v[2:3]
	v_cmp_neq_f64_e64 s[0:1], 1.0, v[4:5]
	s_or_b64 s[0:1], vcc, s[0:1]
	s_and_saveexec_b64 s[2:3], s[0:1]
	s_cbranch_execz .LBB28_26
; %bb.5:
	s_load_dwordx2 s[0:1], s[4:5], 0x18
	s_mov_b32 s7, 0
	s_waitcnt lgkmcnt(0)
	s_cmp_eq_u64 s[0:1], 0
	s_cbranch_scc1 .LBB28_7
; %bb.6:
	s_lshl_b64 s[2:3], s[6:7], 3
	s_add_u32 s0, s0, s2
	s_addc_u32 s1, s1, s3
	s_load_dwordx2 s[0:1], s[0:1], 0x0
	s_waitcnt lgkmcnt(0)
	s_sub_u32 s6, s0, s16
	s_subb_u32 s7, s1, 0
.LBB28_7:
	s_load_dwordx2 s[18:19], s[4:5], 0x40
	v_lshrrev_b32_e32 v6, 4, v0
	v_mov_b32_e32 v7, 0
	s_waitcnt lgkmcnt(0)
	v_cmp_gt_i64_e32 vcc, s[18:19], v[6:7]
	s_and_b64 exec, exec, vcc
	s_cbranch_execz .LBB28_26
; %bb.8:
	s_load_dwordx8 s[8:15], s[4:5], 0x20
	s_lshl_b64 s[0:1], s[6:7], 3
	s_mul_hi_u32 s30, s6, s18
	s_mul_i32 s7, s7, s18
	v_and_b32_e32 v0, 15, v0
	s_waitcnt lgkmcnt(0)
	s_add_u32 s2, s8, s0
	s_addc_u32 s3, s9, s1
	s_load_dwordx2 s[8:9], s[2:3], 0x0
	s_load_dwordx2 s[26:27], s[4:5], 0x58
	;; [unrolled: 1-line block ×3, first 2 shown]
	v_lshlrev_b32_e32 v8, 3, v0
	v_mov_b32_e32 v1, v7
	s_waitcnt lgkmcnt(0)
	s_sub_u32 s22, s8, s16
	s_subb_u32 s23, s9, 0
	s_add_u32 s2, s2, 8
	s_addc_u32 s3, s3, 0
	s_add_u32 s0, s10, s0
	s_addc_u32 s1, s11, s1
	s_cmp_eq_u64 s[10:11], 0
	s_cselect_b32 s1, s3, s1
	s_cselect_b32 s0, s2, s0
	s_load_dwordx2 s[24:25], s[0:1], 0x0
	s_load_dword s17, s[4:5], 0x0
	v_mov_b32_e32 v10, s22
	v_add_co_u32_e32 v8, vcc, s28, v8
	s_waitcnt lgkmcnt(0)
	s_sub_u32 s10, s24, s16
	s_subb_u32 s11, s25, 0
	s_cmp_lg_u32 s17, 0
	s_mul_i32 s17, s6, s19
	v_pk_mov_b32 v[12:13], s[24:25], s[24:25] op_sel:[0,1]
	s_cselect_b64 s[24:25], -1, 0
	s_add_i32 s17, s30, s17
	s_add_i32 s7, s17, s7
	s_mul_i32 s6, s6, s18
	s_lshl_b64 s[6:7], s[6:7], 3
	s_add_u32 s17, s26, s6
	s_addc_u32 s33, s27, s7
	s_mul_i32 s6, s19, s22
	s_mul_i32 s7, s18, s23
	s_add_i32 s28, s7, s6
	v_mad_u64_u32 v[10:11], s[6:7], s18, v10, v[6:7]
	v_mov_b32_e32 v9, s29
	v_add_u32_e32 v11, s28, v11
	v_addc_co_u32_e32 v9, vcc, 0, v9, vcc
	v_mul_lo_u32 v14, s18, v11
	v_mul_lo_u32 v15, s19, v10
	v_mad_u64_u32 v[10:11], s[6:7], s18, v10, 0
	s_mul_i32 s6, s18, s19
	s_mul_hi_u32 s7, s18, s18
	v_cmp_lt_i64_e32 vcc, s[8:9], v[12:13]
	s_add_i32 s7, s7, s6
	v_cndmask_b32_e64 v12, 0, 1, vcc
	s_mov_b64 s[20:21], 0
	v_cmp_eq_f64_e64 s[0:1], 0, v[4:5]
	v_cmp_gt_u64_e64 s[2:3], s[18:19], v[0:1]
	v_cmp_eq_u32_e64 s[4:5], 15, v0
	s_lshl_b64 s[26:27], s[18:19], 3
	v_add3_u32 v11, v11, v14, v15
	s_lshl_b64 s[28:29], s[18:19], 4
	s_add_i32 s38, s7, s6
	s_mul_i32 s39, s18, s18
	v_cmp_ne_u32_e64 s[6:7], 1, v12
	s_branch .LBB28_10
.LBB28_9:                               ;   in Loop: Header=BB28_10 Depth=1
	s_or_b64 exec, exec, s[8:9]
	v_add_co_u32_e32 v6, vcc, 16, v6
	v_addc_co_u32_e32 v7, vcc, 0, v7, vcc
	v_cmp_le_i64_e32 vcc, s[18:19], v[6:7]
	v_mov_b32_e32 v12, s29
	s_or_b64 s[20:21], vcc, s[20:21]
	v_add_co_u32_e32 v10, vcc, s28, v10
	v_addc_co_u32_e32 v11, vcc, v11, v12, vcc
	s_andn2_b64 exec, exec, s[20:21]
	s_cbranch_execz .LBB28_26
.LBB28_10:                              ; =>This Loop Header: Depth=1
                                        ;     Child Loop BB28_14 Depth 2
                                        ;       Child Loop BB28_17 Depth 3
	s_and_b64 vcc, exec, s[6:7]
	v_pk_mov_b32 v[12:13], 0, 0
	s_cbranch_vccnz .LBB28_21
; %bb.11:                               ;   in Loop: Header=BB28_10 Depth=1
	v_pk_mov_b32 v[12:13], 0, 0
	v_pk_mov_b32 v[14:15], v[10:11], v[10:11] op_sel:[0,1]
	s_mov_b64 s[30:31], s[22:23]
	s_branch .LBB28_14
.LBB28_12:                              ;   in Loop: Header=BB28_14 Depth=2
	s_or_b64 exec, exec, s[36:37]
.LBB28_13:                              ;   in Loop: Header=BB28_14 Depth=2
	s_or_b64 exec, exec, s[34:35]
	s_add_u32 s30, s30, 1
	v_mov_b32_e32 v16, s38
	v_add_co_u32_e32 v14, vcc, s39, v14
	s_addc_u32 s31, s31, 0
	v_addc_co_u32_e32 v15, vcc, v15, v16, vcc
	v_pk_mov_b32 v[16:17], s[10:11], s[10:11] op_sel:[0,1]
	v_cmp_ge_i64_e32 vcc, s[30:31], v[16:17]
	s_cbranch_vccnz .LBB28_21
.LBB28_14:                              ;   Parent Loop BB28_10 Depth=1
                                        ; =>  This Loop Header: Depth=2
                                        ;       Child Loop BB28_17 Depth 3
	s_and_saveexec_b64 s[34:35], s[2:3]
	s_cbranch_execz .LBB28_13
; %bb.15:                               ;   in Loop: Header=BB28_14 Depth=2
	s_lshl_b64 s[8:9], s[30:31], 3
	s_add_u32 s8, s12, s8
	s_addc_u32 s9, s13, s9
	s_load_dwordx2 s[8:9], s[8:9], 0x0
	s_mul_i32 s36, s30, s19
	s_mul_hi_u32 s37, s30, s18
	s_mul_i32 s40, s31, s18
	s_mul_i32 s41, s30, s18
	s_waitcnt lgkmcnt(0)
	s_sub_u32 s8, s8, s16
	s_subb_u32 s9, s9, 0
	s_add_i32 s36, s37, s36
	s_add_i32 s40, s36, s40
	s_mul_i32 s36, s27, s8
	s_mul_i32 s9, s26, s9
	v_mov_b32_e32 v16, s8
	s_add_i32 s36, s9, s36
	v_mad_u64_u32 v[16:17], s[8:9], s26, v16, v[8:9]
	v_add_u32_e32 v17, s36, v17
	s_mov_b64 s[36:37], 0
	v_pk_mov_b32 v[18:19], v[0:1], v[0:1] op_sel:[0,1]
	s_branch .LBB28_17
.LBB28_16:                              ;   in Loop: Header=BB28_17 Depth=3
	v_lshlrev_b64 v[20:21], 3, v[20:21]
	v_mov_b32_e32 v22, s15
	v_add_co_u32_e32 v20, vcc, s14, v20
	v_addc_co_u32_e32 v21, vcc, v22, v21, vcc
	global_load_dwordx2 v[22:23], v[16:17], off
	global_load_dwordx2 v[24:25], v[20:21], off
	v_add_co_u32_e32 v18, vcc, 16, v18
	v_addc_co_u32_e32 v19, vcc, 0, v19, vcc
	v_add_co_u32_e32 v16, vcc, 0x80, v16
	v_cmp_le_i64_e64 s[8:9], s[18:19], v[18:19]
	s_or_b64 s[36:37], s[8:9], s[36:37]
	v_addc_co_u32_e32 v17, vcc, 0, v17, vcc
	s_waitcnt vmcnt(0)
	v_fmac_f64_e32 v[12:13], v[24:25], v[22:23]
	s_andn2_b64 exec, exec, s[36:37]
	s_cbranch_execz .LBB28_12
.LBB28_17:                              ;   Parent Loop BB28_10 Depth=1
                                        ;     Parent Loop BB28_14 Depth=2
                                        ; =>    This Inner Loop Header: Depth=3
	s_and_b64 vcc, exec, s[24:25]
	s_cbranch_vccz .LBB28_19
; %bb.18:                               ;   in Loop: Header=BB28_17 Depth=3
	v_mov_b32_e32 v20, s40
	v_add_co_u32_e32 v21, vcc, s41, v18
	v_addc_co_u32_e32 v20, vcc, v19, v20, vcc
	v_mul_lo_u32 v22, v21, s19
	v_mul_lo_u32 v23, v20, s18
	v_mad_u64_u32 v[20:21], s[8:9], v21, s18, v[6:7]
	v_add3_u32 v21, v23, v21, v22
	s_cbranch_execnz .LBB28_16
	s_branch .LBB28_20
.LBB28_19:                              ;   in Loop: Header=BB28_17 Depth=3
                                        ; implicit-def: $vgpr20_vgpr21
.LBB28_20:                              ;   in Loop: Header=BB28_17 Depth=3
	v_add_co_u32_e32 v20, vcc, v14, v18
	v_addc_co_u32_e32 v21, vcc, v15, v19, vcc
	s_branch .LBB28_16
.LBB28_21:                              ;   in Loop: Header=BB28_10 Depth=1
	s_nop 0
	v_mov_b32_dpp v14, v12 row_shr:1 row_mask:0xf bank_mask:0xf
	v_mov_b32_dpp v15, v13 row_shr:1 row_mask:0xf bank_mask:0xf
	v_add_f64 v[12:13], v[12:13], v[14:15]
	s_nop 1
	v_mov_b32_dpp v14, v12 row_shr:2 row_mask:0xf bank_mask:0xf
	v_mov_b32_dpp v15, v13 row_shr:2 row_mask:0xf bank_mask:0xf
	v_add_f64 v[12:13], v[12:13], v[14:15]
	s_nop 1
	v_mov_b32_dpp v14, v12 row_shr:4 row_mask:0xf bank_mask:0xe
	v_mov_b32_dpp v15, v13 row_shr:4 row_mask:0xf bank_mask:0xe
	v_add_f64 v[12:13], v[12:13], v[14:15]
	s_nop 1
	v_mov_b32_dpp v14, v12 row_shr:8 row_mask:0xf bank_mask:0xc
	v_mov_b32_dpp v15, v13 row_shr:8 row_mask:0xf bank_mask:0xc
	s_and_saveexec_b64 s[8:9], s[4:5]
	s_cbranch_execz .LBB28_9
; %bb.22:                               ;   in Loop: Header=BB28_10 Depth=1
	v_add_f64 v[12:13], v[12:13], v[14:15]
	v_mul_f64 v[12:13], v[2:3], v[12:13]
	v_lshlrev_b64 v[14:15], 3, v[6:7]
	s_and_saveexec_b64 s[30:31], s[0:1]
	s_xor_b64 s[30:31], exec, s[30:31]
	s_cbranch_execz .LBB28_24
; %bb.23:                               ;   in Loop: Header=BB28_10 Depth=1
	v_mov_b32_e32 v16, s33
	v_add_co_u32_e32 v14, vcc, s17, v14
	v_addc_co_u32_e32 v15, vcc, v16, v15, vcc
	global_store_dwordx2 v[14:15], v[12:13], off
                                        ; implicit-def: $vgpr14_vgpr15
                                        ; implicit-def: $vgpr12_vgpr13
.LBB28_24:                              ;   in Loop: Header=BB28_10 Depth=1
	s_andn2_saveexec_b64 s[30:31], s[30:31]
	s_cbranch_execz .LBB28_9
; %bb.25:                               ;   in Loop: Header=BB28_10 Depth=1
	v_mov_b32_e32 v16, s33
	v_add_co_u32_e32 v14, vcc, s17, v14
	v_addc_co_u32_e32 v15, vcc, v16, v15, vcc
	global_load_dwordx2 v[16:17], v[14:15], off
	s_waitcnt vmcnt(0)
	v_fmac_f64_e32 v[12:13], v[4:5], v[16:17]
	global_store_dwordx2 v[14:15], v[12:13], off
	s_branch .LBB28_9
.LBB28_26:
	s_endpgm
	.section	.rodata,"a",@progbits
	.p2align	6, 0x0
	.amdhsa_kernel _ZN9rocsparseL22bsrxmvn_general_kernelILj256ELj16EdlldddEEv20rocsparse_direction_NS_24const_host_device_scalarIT1_EET3_PKS5_PKT2_SA_S7_PKT4_S5_PKT5_S4_PT6_21rocsparse_index_base_b
		.amdhsa_group_segment_fixed_size 0
		.amdhsa_private_segment_fixed_size 0
		.amdhsa_kernarg_size 104
		.amdhsa_user_sgpr_count 6
		.amdhsa_user_sgpr_private_segment_buffer 1
		.amdhsa_user_sgpr_dispatch_ptr 0
		.amdhsa_user_sgpr_queue_ptr 0
		.amdhsa_user_sgpr_kernarg_segment_ptr 1
		.amdhsa_user_sgpr_dispatch_id 0
		.amdhsa_user_sgpr_flat_scratch_init 0
		.amdhsa_user_sgpr_kernarg_preload_length 0
		.amdhsa_user_sgpr_kernarg_preload_offset 0
		.amdhsa_user_sgpr_private_segment_size 0
		.amdhsa_uses_dynamic_stack 0
		.amdhsa_system_sgpr_private_segment_wavefront_offset 0
		.amdhsa_system_sgpr_workgroup_id_x 1
		.amdhsa_system_sgpr_workgroup_id_y 0
		.amdhsa_system_sgpr_workgroup_id_z 0
		.amdhsa_system_sgpr_workgroup_info 0
		.amdhsa_system_vgpr_workitem_id 0
		.amdhsa_next_free_vgpr 26
		.amdhsa_next_free_sgpr 42
		.amdhsa_accum_offset 28
		.amdhsa_reserve_vcc 1
		.amdhsa_reserve_flat_scratch 0
		.amdhsa_float_round_mode_32 0
		.amdhsa_float_round_mode_16_64 0
		.amdhsa_float_denorm_mode_32 3
		.amdhsa_float_denorm_mode_16_64 3
		.amdhsa_dx10_clamp 1
		.amdhsa_ieee_mode 1
		.amdhsa_fp16_overflow 0
		.amdhsa_tg_split 0
		.amdhsa_exception_fp_ieee_invalid_op 0
		.amdhsa_exception_fp_denorm_src 0
		.amdhsa_exception_fp_ieee_div_zero 0
		.amdhsa_exception_fp_ieee_overflow 0
		.amdhsa_exception_fp_ieee_underflow 0
		.amdhsa_exception_fp_ieee_inexact 0
		.amdhsa_exception_int_div_zero 0
	.end_amdhsa_kernel
	.section	.text._ZN9rocsparseL22bsrxmvn_general_kernelILj256ELj16EdlldddEEv20rocsparse_direction_NS_24const_host_device_scalarIT1_EET3_PKS5_PKT2_SA_S7_PKT4_S5_PKT5_S4_PT6_21rocsparse_index_base_b,"axG",@progbits,_ZN9rocsparseL22bsrxmvn_general_kernelILj256ELj16EdlldddEEv20rocsparse_direction_NS_24const_host_device_scalarIT1_EET3_PKS5_PKT2_SA_S7_PKT4_S5_PKT5_S4_PT6_21rocsparse_index_base_b,comdat
.Lfunc_end28:
	.size	_ZN9rocsparseL22bsrxmvn_general_kernelILj256ELj16EdlldddEEv20rocsparse_direction_NS_24const_host_device_scalarIT1_EET3_PKS5_PKT2_SA_S7_PKT4_S5_PKT5_S4_PT6_21rocsparse_index_base_b, .Lfunc_end28-_ZN9rocsparseL22bsrxmvn_general_kernelILj256ELj16EdlldddEEv20rocsparse_direction_NS_24const_host_device_scalarIT1_EET3_PKS5_PKT2_SA_S7_PKT4_S5_PKT5_S4_PT6_21rocsparse_index_base_b
                                        ; -- End function
	.section	.AMDGPU.csdata,"",@progbits
; Kernel info:
; codeLenInByte = 1160
; NumSgprs: 46
; NumVgprs: 26
; NumAgprs: 0
; TotalNumVgprs: 26
; ScratchSize: 0
; MemoryBound: 0
; FloatMode: 240
; IeeeMode: 1
; LDSByteSize: 0 bytes/workgroup (compile time only)
; SGPRBlocks: 5
; VGPRBlocks: 3
; NumSGPRsForWavesPerEU: 46
; NumVGPRsForWavesPerEU: 26
; AccumOffset: 28
; Occupancy: 8
; WaveLimiterHint : 1
; COMPUTE_PGM_RSRC2:SCRATCH_EN: 0
; COMPUTE_PGM_RSRC2:USER_SGPR: 6
; COMPUTE_PGM_RSRC2:TRAP_HANDLER: 0
; COMPUTE_PGM_RSRC2:TGID_X_EN: 1
; COMPUTE_PGM_RSRC2:TGID_Y_EN: 0
; COMPUTE_PGM_RSRC2:TGID_Z_EN: 0
; COMPUTE_PGM_RSRC2:TIDIG_COMP_CNT: 0
; COMPUTE_PGM_RSRC3_GFX90A:ACCUM_OFFSET: 6
; COMPUTE_PGM_RSRC3_GFX90A:TG_SPLIT: 0
	.section	.text._ZN9rocsparseL22bsrxmvn_general_kernelILj1024ELj32EdlldddEEv20rocsparse_direction_NS_24const_host_device_scalarIT1_EET3_PKS5_PKT2_SA_S7_PKT4_S5_PKT5_S4_PT6_21rocsparse_index_base_b,"axG",@progbits,_ZN9rocsparseL22bsrxmvn_general_kernelILj1024ELj32EdlldddEEv20rocsparse_direction_NS_24const_host_device_scalarIT1_EET3_PKS5_PKT2_SA_S7_PKT4_S5_PKT5_S4_PT6_21rocsparse_index_base_b,comdat
	.globl	_ZN9rocsparseL22bsrxmvn_general_kernelILj1024ELj32EdlldddEEv20rocsparse_direction_NS_24const_host_device_scalarIT1_EET3_PKS5_PKT2_SA_S7_PKT4_S5_PKT5_S4_PT6_21rocsparse_index_base_b ; -- Begin function _ZN9rocsparseL22bsrxmvn_general_kernelILj1024ELj32EdlldddEEv20rocsparse_direction_NS_24const_host_device_scalarIT1_EET3_PKS5_PKT2_SA_S7_PKT4_S5_PKT5_S4_PT6_21rocsparse_index_base_b
	.p2align	8
	.type	_ZN9rocsparseL22bsrxmvn_general_kernelILj1024ELj32EdlldddEEv20rocsparse_direction_NS_24const_host_device_scalarIT1_EET3_PKS5_PKT2_SA_S7_PKT4_S5_PKT5_S4_PT6_21rocsparse_index_base_b,@function
_ZN9rocsparseL22bsrxmvn_general_kernelILj1024ELj32EdlldddEEv20rocsparse_direction_NS_24const_host_device_scalarIT1_EET3_PKS5_PKT2_SA_S7_PKT4_S5_PKT5_S4_PT6_21rocsparse_index_base_b: ; @_ZN9rocsparseL22bsrxmvn_general_kernelILj1024ELj32EdlldddEEv20rocsparse_direction_NS_24const_host_device_scalarIT1_EET3_PKS5_PKT2_SA_S7_PKT4_S5_PKT5_S4_PT6_21rocsparse_index_base_b
; %bb.0:
	s_load_dwordx2 s[16:17], s[4:5], 0x60
	s_load_dwordx2 s[8:9], s[4:5], 0x8
	;; [unrolled: 1-line block ×3, first 2 shown]
	s_waitcnt lgkmcnt(0)
	s_bitcmp1_b32 s17, 0
	s_cselect_b64 s[10:11], -1, 0
	s_xor_b64 s[2:3], s[10:11], -1
	s_and_b64 vcc, exec, s[10:11]
	v_pk_mov_b32 v[2:3], s[8:9], s[8:9] op_sel:[0,1]
	s_cbranch_vccnz .LBB29_2
; %bb.1:
	v_pk_mov_b32 v[2:3], s[8:9], s[8:9] op_sel:[0,1]
	flat_load_dwordx2 v[2:3], v[2:3]
.LBB29_2:
	s_andn2_b64 vcc, exec, s[2:3]
	v_pk_mov_b32 v[4:5], s[0:1], s[0:1] op_sel:[0,1]
	s_cbranch_vccnz .LBB29_4
; %bb.3:
	v_pk_mov_b32 v[4:5], s[0:1], s[0:1] op_sel:[0,1]
	flat_load_dwordx2 v[4:5], v[4:5]
.LBB29_4:
	s_waitcnt vmcnt(0) lgkmcnt(0)
	v_cmp_neq_f64_e32 vcc, 0, v[2:3]
	v_cmp_neq_f64_e64 s[0:1], 1.0, v[4:5]
	s_or_b64 s[0:1], vcc, s[0:1]
	s_and_saveexec_b64 s[2:3], s[0:1]
	s_cbranch_execz .LBB29_26
; %bb.5:
	s_load_dwordx2 s[0:1], s[4:5], 0x18
	s_mov_b32 s7, 0
	s_waitcnt lgkmcnt(0)
	s_cmp_eq_u64 s[0:1], 0
	s_cbranch_scc1 .LBB29_7
; %bb.6:
	s_lshl_b64 s[2:3], s[6:7], 3
	s_add_u32 s0, s0, s2
	s_addc_u32 s1, s1, s3
	s_load_dwordx2 s[0:1], s[0:1], 0x0
	s_waitcnt lgkmcnt(0)
	s_sub_u32 s6, s0, s16
	s_subb_u32 s7, s1, 0
.LBB29_7:
	s_load_dwordx2 s[18:19], s[4:5], 0x40
	v_lshrrev_b32_e32 v6, 5, v0
	v_mov_b32_e32 v7, 0
	s_waitcnt lgkmcnt(0)
	v_cmp_gt_i64_e32 vcc, s[18:19], v[6:7]
	s_and_b64 exec, exec, vcc
	s_cbranch_execz .LBB29_26
; %bb.8:
	s_load_dwordx8 s[8:15], s[4:5], 0x20
	s_lshl_b64 s[0:1], s[6:7], 3
	s_mul_hi_u32 s30, s6, s18
	s_mul_i32 s7, s7, s18
	v_and_b32_e32 v0, 31, v0
	s_waitcnt lgkmcnt(0)
	s_add_u32 s2, s8, s0
	s_addc_u32 s3, s9, s1
	s_load_dwordx2 s[8:9], s[2:3], 0x0
	s_load_dwordx2 s[26:27], s[4:5], 0x58
	;; [unrolled: 1-line block ×3, first 2 shown]
	v_lshlrev_b32_e32 v8, 3, v0
	v_mov_b32_e32 v1, v7
	s_waitcnt lgkmcnt(0)
	s_sub_u32 s22, s8, s16
	s_subb_u32 s23, s9, 0
	s_add_u32 s2, s2, 8
	s_addc_u32 s3, s3, 0
	s_add_u32 s0, s10, s0
	s_addc_u32 s1, s11, s1
	s_cmp_eq_u64 s[10:11], 0
	s_cselect_b32 s1, s3, s1
	s_cselect_b32 s0, s2, s0
	s_load_dwordx2 s[24:25], s[0:1], 0x0
	s_load_dword s17, s[4:5], 0x0
	v_mov_b32_e32 v10, s22
	v_add_co_u32_e32 v8, vcc, s28, v8
	s_waitcnt lgkmcnt(0)
	s_sub_u32 s10, s24, s16
	s_subb_u32 s11, s25, 0
	s_cmp_lg_u32 s17, 0
	s_mul_i32 s17, s6, s19
	v_pk_mov_b32 v[12:13], s[24:25], s[24:25] op_sel:[0,1]
	s_cselect_b64 s[24:25], -1, 0
	s_add_i32 s17, s30, s17
	s_add_i32 s7, s17, s7
	s_mul_i32 s6, s6, s18
	s_lshl_b64 s[6:7], s[6:7], 3
	s_add_u32 s17, s26, s6
	s_addc_u32 s33, s27, s7
	s_mul_i32 s6, s19, s22
	s_mul_i32 s7, s18, s23
	s_add_i32 s28, s7, s6
	v_mad_u64_u32 v[10:11], s[6:7], s18, v10, v[6:7]
	v_mov_b32_e32 v9, s29
	v_add_u32_e32 v11, s28, v11
	v_addc_co_u32_e32 v9, vcc, 0, v9, vcc
	v_mul_lo_u32 v14, s18, v11
	v_mul_lo_u32 v15, s19, v10
	v_mad_u64_u32 v[10:11], s[6:7], s18, v10, 0
	s_mul_i32 s6, s18, s19
	s_mul_hi_u32 s7, s18, s18
	v_cmp_lt_i64_e32 vcc, s[8:9], v[12:13]
	s_add_i32 s7, s7, s6
	v_cndmask_b32_e64 v12, 0, 1, vcc
	s_mov_b64 s[20:21], 0
	v_cmp_eq_f64_e64 s[0:1], 0, v[4:5]
	v_cmp_gt_u64_e64 s[2:3], s[18:19], v[0:1]
	v_cmp_eq_u32_e64 s[4:5], 31, v0
	s_lshl_b64 s[26:27], s[18:19], 3
	v_add3_u32 v11, v11, v14, v15
	s_lshl_b64 s[28:29], s[18:19], 5
	s_add_i32 s38, s7, s6
	s_mul_i32 s39, s18, s18
	v_cmp_ne_u32_e64 s[6:7], 1, v12
	s_branch .LBB29_10
.LBB29_9:                               ;   in Loop: Header=BB29_10 Depth=1
	s_or_b64 exec, exec, s[8:9]
	v_add_co_u32_e32 v6, vcc, 32, v6
	v_addc_co_u32_e32 v7, vcc, 0, v7, vcc
	v_cmp_le_i64_e32 vcc, s[18:19], v[6:7]
	v_mov_b32_e32 v12, s29
	s_or_b64 s[20:21], vcc, s[20:21]
	v_add_co_u32_e32 v10, vcc, s28, v10
	v_addc_co_u32_e32 v11, vcc, v11, v12, vcc
	s_andn2_b64 exec, exec, s[20:21]
	s_cbranch_execz .LBB29_26
.LBB29_10:                              ; =>This Loop Header: Depth=1
                                        ;     Child Loop BB29_14 Depth 2
                                        ;       Child Loop BB29_17 Depth 3
	s_and_b64 vcc, exec, s[6:7]
	v_pk_mov_b32 v[12:13], 0, 0
	s_cbranch_vccnz .LBB29_21
; %bb.11:                               ;   in Loop: Header=BB29_10 Depth=1
	v_pk_mov_b32 v[12:13], 0, 0
	v_pk_mov_b32 v[14:15], v[10:11], v[10:11] op_sel:[0,1]
	s_mov_b64 s[30:31], s[22:23]
	s_branch .LBB29_14
.LBB29_12:                              ;   in Loop: Header=BB29_14 Depth=2
	s_or_b64 exec, exec, s[36:37]
.LBB29_13:                              ;   in Loop: Header=BB29_14 Depth=2
	s_or_b64 exec, exec, s[34:35]
	s_add_u32 s30, s30, 1
	v_mov_b32_e32 v16, s38
	v_add_co_u32_e32 v14, vcc, s39, v14
	s_addc_u32 s31, s31, 0
	v_addc_co_u32_e32 v15, vcc, v15, v16, vcc
	v_pk_mov_b32 v[16:17], s[10:11], s[10:11] op_sel:[0,1]
	v_cmp_ge_i64_e32 vcc, s[30:31], v[16:17]
	s_cbranch_vccnz .LBB29_21
.LBB29_14:                              ;   Parent Loop BB29_10 Depth=1
                                        ; =>  This Loop Header: Depth=2
                                        ;       Child Loop BB29_17 Depth 3
	s_and_saveexec_b64 s[34:35], s[2:3]
	s_cbranch_execz .LBB29_13
; %bb.15:                               ;   in Loop: Header=BB29_14 Depth=2
	s_lshl_b64 s[8:9], s[30:31], 3
	s_add_u32 s8, s12, s8
	s_addc_u32 s9, s13, s9
	s_load_dwordx2 s[8:9], s[8:9], 0x0
	s_mul_i32 s36, s30, s19
	s_mul_hi_u32 s37, s30, s18
	s_mul_i32 s40, s31, s18
	s_mul_i32 s41, s30, s18
	s_waitcnt lgkmcnt(0)
	s_sub_u32 s8, s8, s16
	s_subb_u32 s9, s9, 0
	s_add_i32 s36, s37, s36
	s_add_i32 s40, s36, s40
	s_mul_i32 s36, s27, s8
	s_mul_i32 s9, s26, s9
	v_mov_b32_e32 v16, s8
	s_add_i32 s36, s9, s36
	v_mad_u64_u32 v[16:17], s[8:9], s26, v16, v[8:9]
	v_add_u32_e32 v17, s36, v17
	s_mov_b64 s[36:37], 0
	v_pk_mov_b32 v[18:19], v[0:1], v[0:1] op_sel:[0,1]
	s_branch .LBB29_17
.LBB29_16:                              ;   in Loop: Header=BB29_17 Depth=3
	v_lshlrev_b64 v[20:21], 3, v[20:21]
	v_mov_b32_e32 v22, s15
	v_add_co_u32_e32 v20, vcc, s14, v20
	v_addc_co_u32_e32 v21, vcc, v22, v21, vcc
	global_load_dwordx2 v[22:23], v[16:17], off
	global_load_dwordx2 v[24:25], v[20:21], off
	v_add_co_u32_e32 v18, vcc, 32, v18
	v_addc_co_u32_e32 v19, vcc, 0, v19, vcc
	v_add_co_u32_e32 v16, vcc, 0x100, v16
	v_cmp_le_i64_e64 s[8:9], s[18:19], v[18:19]
	s_or_b64 s[36:37], s[8:9], s[36:37]
	v_addc_co_u32_e32 v17, vcc, 0, v17, vcc
	s_waitcnt vmcnt(0)
	v_fmac_f64_e32 v[12:13], v[24:25], v[22:23]
	s_andn2_b64 exec, exec, s[36:37]
	s_cbranch_execz .LBB29_12
.LBB29_17:                              ;   Parent Loop BB29_10 Depth=1
                                        ;     Parent Loop BB29_14 Depth=2
                                        ; =>    This Inner Loop Header: Depth=3
	s_and_b64 vcc, exec, s[24:25]
	s_cbranch_vccz .LBB29_19
; %bb.18:                               ;   in Loop: Header=BB29_17 Depth=3
	v_mov_b32_e32 v20, s40
	v_add_co_u32_e32 v21, vcc, s41, v18
	v_addc_co_u32_e32 v20, vcc, v19, v20, vcc
	v_mul_lo_u32 v22, v21, s19
	v_mul_lo_u32 v23, v20, s18
	v_mad_u64_u32 v[20:21], s[8:9], v21, s18, v[6:7]
	v_add3_u32 v21, v23, v21, v22
	s_cbranch_execnz .LBB29_16
	s_branch .LBB29_20
.LBB29_19:                              ;   in Loop: Header=BB29_17 Depth=3
                                        ; implicit-def: $vgpr20_vgpr21
.LBB29_20:                              ;   in Loop: Header=BB29_17 Depth=3
	v_add_co_u32_e32 v20, vcc, v14, v18
	v_addc_co_u32_e32 v21, vcc, v15, v19, vcc
	s_branch .LBB29_16
.LBB29_21:                              ;   in Loop: Header=BB29_10 Depth=1
	s_nop 0
	v_mov_b32_dpp v14, v12 row_shr:1 row_mask:0xf bank_mask:0xf
	v_mov_b32_dpp v15, v13 row_shr:1 row_mask:0xf bank_mask:0xf
	v_add_f64 v[12:13], v[12:13], v[14:15]
	s_nop 1
	v_mov_b32_dpp v14, v12 row_shr:2 row_mask:0xf bank_mask:0xf
	v_mov_b32_dpp v15, v13 row_shr:2 row_mask:0xf bank_mask:0xf
	v_add_f64 v[12:13], v[12:13], v[14:15]
	;; [unrolled: 4-line block ×4, first 2 shown]
	s_nop 1
	v_mov_b32_dpp v14, v12 row_bcast:15 row_mask:0xa bank_mask:0xf
	v_mov_b32_dpp v15, v13 row_bcast:15 row_mask:0xa bank_mask:0xf
	s_and_saveexec_b64 s[8:9], s[4:5]
	s_cbranch_execz .LBB29_9
; %bb.22:                               ;   in Loop: Header=BB29_10 Depth=1
	v_add_f64 v[12:13], v[12:13], v[14:15]
	v_mul_f64 v[12:13], v[2:3], v[12:13]
	v_lshlrev_b64 v[14:15], 3, v[6:7]
	s_and_saveexec_b64 s[30:31], s[0:1]
	s_xor_b64 s[30:31], exec, s[30:31]
	s_cbranch_execz .LBB29_24
; %bb.23:                               ;   in Loop: Header=BB29_10 Depth=1
	v_mov_b32_e32 v16, s33
	v_add_co_u32_e32 v14, vcc, s17, v14
	v_addc_co_u32_e32 v15, vcc, v16, v15, vcc
	global_store_dwordx2 v[14:15], v[12:13], off
                                        ; implicit-def: $vgpr14_vgpr15
                                        ; implicit-def: $vgpr12_vgpr13
.LBB29_24:                              ;   in Loop: Header=BB29_10 Depth=1
	s_andn2_saveexec_b64 s[30:31], s[30:31]
	s_cbranch_execz .LBB29_9
; %bb.25:                               ;   in Loop: Header=BB29_10 Depth=1
	v_mov_b32_e32 v16, s33
	v_add_co_u32_e32 v14, vcc, s17, v14
	v_addc_co_u32_e32 v15, vcc, v16, v15, vcc
	global_load_dwordx2 v[16:17], v[14:15], off
	s_waitcnt vmcnt(0)
	v_fmac_f64_e32 v[12:13], v[4:5], v[16:17]
	global_store_dwordx2 v[14:15], v[12:13], off
	s_branch .LBB29_9
.LBB29_26:
	s_endpgm
	.section	.rodata,"a",@progbits
	.p2align	6, 0x0
	.amdhsa_kernel _ZN9rocsparseL22bsrxmvn_general_kernelILj1024ELj32EdlldddEEv20rocsparse_direction_NS_24const_host_device_scalarIT1_EET3_PKS5_PKT2_SA_S7_PKT4_S5_PKT5_S4_PT6_21rocsparse_index_base_b
		.amdhsa_group_segment_fixed_size 0
		.amdhsa_private_segment_fixed_size 0
		.amdhsa_kernarg_size 104
		.amdhsa_user_sgpr_count 6
		.amdhsa_user_sgpr_private_segment_buffer 1
		.amdhsa_user_sgpr_dispatch_ptr 0
		.amdhsa_user_sgpr_queue_ptr 0
		.amdhsa_user_sgpr_kernarg_segment_ptr 1
		.amdhsa_user_sgpr_dispatch_id 0
		.amdhsa_user_sgpr_flat_scratch_init 0
		.amdhsa_user_sgpr_kernarg_preload_length 0
		.amdhsa_user_sgpr_kernarg_preload_offset 0
		.amdhsa_user_sgpr_private_segment_size 0
		.amdhsa_uses_dynamic_stack 0
		.amdhsa_system_sgpr_private_segment_wavefront_offset 0
		.amdhsa_system_sgpr_workgroup_id_x 1
		.amdhsa_system_sgpr_workgroup_id_y 0
		.amdhsa_system_sgpr_workgroup_id_z 0
		.amdhsa_system_sgpr_workgroup_info 0
		.amdhsa_system_vgpr_workitem_id 0
		.amdhsa_next_free_vgpr 26
		.amdhsa_next_free_sgpr 42
		.amdhsa_accum_offset 28
		.amdhsa_reserve_vcc 1
		.amdhsa_reserve_flat_scratch 0
		.amdhsa_float_round_mode_32 0
		.amdhsa_float_round_mode_16_64 0
		.amdhsa_float_denorm_mode_32 3
		.amdhsa_float_denorm_mode_16_64 3
		.amdhsa_dx10_clamp 1
		.amdhsa_ieee_mode 1
		.amdhsa_fp16_overflow 0
		.amdhsa_tg_split 0
		.amdhsa_exception_fp_ieee_invalid_op 0
		.amdhsa_exception_fp_denorm_src 0
		.amdhsa_exception_fp_ieee_div_zero 0
		.amdhsa_exception_fp_ieee_overflow 0
		.amdhsa_exception_fp_ieee_underflow 0
		.amdhsa_exception_fp_ieee_inexact 0
		.amdhsa_exception_int_div_zero 0
	.end_amdhsa_kernel
	.section	.text._ZN9rocsparseL22bsrxmvn_general_kernelILj1024ELj32EdlldddEEv20rocsparse_direction_NS_24const_host_device_scalarIT1_EET3_PKS5_PKT2_SA_S7_PKT4_S5_PKT5_S4_PT6_21rocsparse_index_base_b,"axG",@progbits,_ZN9rocsparseL22bsrxmvn_general_kernelILj1024ELj32EdlldddEEv20rocsparse_direction_NS_24const_host_device_scalarIT1_EET3_PKS5_PKT2_SA_S7_PKT4_S5_PKT5_S4_PT6_21rocsparse_index_base_b,comdat
.Lfunc_end29:
	.size	_ZN9rocsparseL22bsrxmvn_general_kernelILj1024ELj32EdlldddEEv20rocsparse_direction_NS_24const_host_device_scalarIT1_EET3_PKS5_PKT2_SA_S7_PKT4_S5_PKT5_S4_PT6_21rocsparse_index_base_b, .Lfunc_end29-_ZN9rocsparseL22bsrxmvn_general_kernelILj1024ELj32EdlldddEEv20rocsparse_direction_NS_24const_host_device_scalarIT1_EET3_PKS5_PKT2_SA_S7_PKT4_S5_PKT5_S4_PT6_21rocsparse_index_base_b
                                        ; -- End function
	.section	.AMDGPU.csdata,"",@progbits
; Kernel info:
; codeLenInByte = 1188
; NumSgprs: 46
; NumVgprs: 26
; NumAgprs: 0
; TotalNumVgprs: 26
; ScratchSize: 0
; MemoryBound: 0
; FloatMode: 240
; IeeeMode: 1
; LDSByteSize: 0 bytes/workgroup (compile time only)
; SGPRBlocks: 5
; VGPRBlocks: 3
; NumSGPRsForWavesPerEU: 46
; NumVGPRsForWavesPerEU: 26
; AccumOffset: 28
; Occupancy: 8
; WaveLimiterHint : 1
; COMPUTE_PGM_RSRC2:SCRATCH_EN: 0
; COMPUTE_PGM_RSRC2:USER_SGPR: 6
; COMPUTE_PGM_RSRC2:TRAP_HANDLER: 0
; COMPUTE_PGM_RSRC2:TGID_X_EN: 1
; COMPUTE_PGM_RSRC2:TGID_Y_EN: 0
; COMPUTE_PGM_RSRC2:TGID_Z_EN: 0
; COMPUTE_PGM_RSRC2:TIDIG_COMP_CNT: 0
; COMPUTE_PGM_RSRC3_GFX90A:ACCUM_OFFSET: 6
; COMPUTE_PGM_RSRC3_GFX90A:TG_SPLIT: 0
	.section	.text._ZN9rocsparseL22bsrxmvn_general_kernelILj64ELj8E21rocsparse_complex_numIfEllS2_S2_S2_EEv20rocsparse_direction_NS_24const_host_device_scalarIT1_EET3_PKS7_PKT2_SC_S9_PKT4_S7_PKT5_S6_PT6_21rocsparse_index_base_b,"axG",@progbits,_ZN9rocsparseL22bsrxmvn_general_kernelILj64ELj8E21rocsparse_complex_numIfEllS2_S2_S2_EEv20rocsparse_direction_NS_24const_host_device_scalarIT1_EET3_PKS7_PKT2_SC_S9_PKT4_S7_PKT5_S6_PT6_21rocsparse_index_base_b,comdat
	.globl	_ZN9rocsparseL22bsrxmvn_general_kernelILj64ELj8E21rocsparse_complex_numIfEllS2_S2_S2_EEv20rocsparse_direction_NS_24const_host_device_scalarIT1_EET3_PKS7_PKT2_SC_S9_PKT4_S7_PKT5_S6_PT6_21rocsparse_index_base_b ; -- Begin function _ZN9rocsparseL22bsrxmvn_general_kernelILj64ELj8E21rocsparse_complex_numIfEllS2_S2_S2_EEv20rocsparse_direction_NS_24const_host_device_scalarIT1_EET3_PKS7_PKT2_SC_S9_PKT4_S7_PKT5_S6_PT6_21rocsparse_index_base_b
	.p2align	8
	.type	_ZN9rocsparseL22bsrxmvn_general_kernelILj64ELj8E21rocsparse_complex_numIfEllS2_S2_S2_EEv20rocsparse_direction_NS_24const_host_device_scalarIT1_EET3_PKS7_PKT2_SC_S9_PKT4_S7_PKT5_S6_PT6_21rocsparse_index_base_b,@function
_ZN9rocsparseL22bsrxmvn_general_kernelILj64ELj8E21rocsparse_complex_numIfEllS2_S2_S2_EEv20rocsparse_direction_NS_24const_host_device_scalarIT1_EET3_PKS7_PKT2_SC_S9_PKT4_S7_PKT5_S6_PT6_21rocsparse_index_base_b: ; @_ZN9rocsparseL22bsrxmvn_general_kernelILj64ELj8E21rocsparse_complex_numIfEllS2_S2_S2_EEv20rocsparse_direction_NS_24const_host_device_scalarIT1_EET3_PKS7_PKT2_SC_S9_PKT4_S7_PKT5_S6_PT6_21rocsparse_index_base_b
; %bb.0:
	s_load_dwordx2 s[16:17], s[4:5], 0x60
	s_load_dwordx2 s[8:9], s[4:5], 0x8
	;; [unrolled: 1-line block ×3, first 2 shown]
	s_waitcnt lgkmcnt(0)
	s_bitcmp1_b32 s17, 0
	s_cselect_b64 s[0:1], -1, 0
	s_xor_b64 s[10:11], s[0:1], -1
	s_and_b64 vcc, exec, s[0:1]
	v_mov_b32_e32 v2, s8
	s_cbranch_vccnz .LBB30_2
; %bb.1:
	v_pk_mov_b32 v[2:3], s[8:9], s[8:9] op_sel:[0,1]
	flat_load_dword v2, v[2:3]
.LBB30_2:
	v_cndmask_b32_e64 v1, 0, 1, s[10:11]
	v_cmp_ne_u32_e64 s[0:1], 1, v1
	s_andn2_b64 vcc, exec, s[10:11]
	v_mov_b32_e32 v3, s9
	s_cbranch_vccz .LBB30_31
; %bb.3:
	s_and_b64 vcc, exec, s[0:1]
	v_mov_b32_e32 v4, s2
	s_cbranch_vccz .LBB30_32
.LBB30_4:
	s_and_b64 vcc, exec, s[0:1]
	v_mov_b32_e32 v5, s3
	s_cbranch_vccnz .LBB30_6
.LBB30_5:
	v_pk_mov_b32 v[6:7], s[2:3], s[2:3] op_sel:[0,1]
	flat_load_dword v5, v[6:7] offset:4
.LBB30_6:
	s_waitcnt vmcnt(0) lgkmcnt(0)
	v_and_b32_e32 v1, 0x7fffffff, v2
	v_cmp_eq_u32_e32 vcc, 0, v1
	v_cmp_eq_f32_e64 s[0:1], 0, v3
	s_and_b64 s[8:9], vcc, s[0:1]
	s_mov_b64 s[0:1], -1
	s_and_saveexec_b64 s[2:3], s[8:9]
; %bb.7:
	v_and_b32_e32 v1, 0x7fffffff, v5
	v_cmp_neq_f32_e32 vcc, 1.0, v4
	v_cmp_ne_u32_e64 s[0:1], 0, v1
	s_or_b64 s[0:1], vcc, s[0:1]
	s_orn2_b64 s[0:1], s[0:1], exec
; %bb.8:
	s_or_b64 exec, exec, s[2:3]
	s_and_saveexec_b64 s[2:3], s[0:1]
	s_cbranch_execz .LBB30_30
; %bb.9:
	s_load_dwordx2 s[0:1], s[4:5], 0x18
	s_mov_b32 s7, 0
	s_waitcnt lgkmcnt(0)
	s_cmp_eq_u64 s[0:1], 0
	s_cbranch_scc1 .LBB30_11
; %bb.10:
	s_lshl_b64 s[2:3], s[6:7], 3
	s_add_u32 s0, s0, s2
	s_addc_u32 s1, s1, s3
	s_load_dwordx2 s[0:1], s[0:1], 0x0
	s_waitcnt lgkmcnt(0)
	s_sub_u32 s6, s0, s16
	s_subb_u32 s7, s1, 0
.LBB30_11:
	s_load_dwordx2 s[18:19], s[4:5], 0x40
	v_lshrrev_b32_e32 v6, 3, v0
	v_mov_b32_e32 v7, 0
	s_waitcnt lgkmcnt(0)
	v_cmp_gt_i64_e32 vcc, s[18:19], v[6:7]
	s_and_b64 exec, exec, vcc
	s_cbranch_execz .LBB30_30
; %bb.12:
	s_load_dwordx8 s[8:15], s[4:5], 0x20
	s_lshl_b64 s[0:1], s[6:7], 3
	v_and_b32_e32 v8, 0x7fffffff, v4
	v_cmp_eq_u32_e32 vcc, 0, v8
	v_and_b32_e32 v0, 7, v0
	s_waitcnt lgkmcnt(0)
	s_add_u32 s2, s8, s0
	s_addc_u32 s3, s9, s1
	s_load_dwordx2 s[28:29], s[2:3], 0x0
	s_load_dwordx2 s[30:31], s[4:5], 0x58
	;; [unrolled: 1-line block ×3, first 2 shown]
	v_lshlrev_b32_e32 v12, 3, v0
	s_load_dword s4, s[4:5], 0x0
	s_waitcnt lgkmcnt(0)
	s_sub_u32 s22, s28, s16
	s_subb_u32 s23, s29, 0
	s_add_u32 s2, s2, 8
	s_addc_u32 s3, s3, 0
	s_add_u32 s0, s10, s0
	s_addc_u32 s1, s11, s1
	s_cmp_eq_u64 s[10:11], 0
	s_cselect_b32 s1, s3, s1
	s_cselect_b32 s0, s2, s0
	s_load_dwordx2 s[24:25], s[0:1], 0x0
	v_mov_b32_e32 v13, s35
	v_mov_b32_e32 v14, s22
	;; [unrolled: 1-line block ×3, first 2 shown]
	s_mov_b64 s[8:9], 0
	s_waitcnt lgkmcnt(0)
	s_sub_u32 s10, s24, s16
	s_subb_u32 s11, s25, 0
	s_cmp_lg_u32 s4, 0
	v_cmp_eq_f32_e64 s[4:5], 0, v5
	v_pk_mov_b32 v[16:17], s[24:25], s[24:25] op_sel:[0,1]
	s_cselect_b64 s[24:25], -1, 0
	s_and_b64 s[26:27], vcc, s[4:5]
	s_mul_i32 s4, s6, s19
	s_mul_hi_u32 s5, s6, s18
	s_add_i32 s4, s5, s4
	s_mul_i32 s5, s7, s18
	s_add_i32 s5, s4, s5
	s_mul_i32 s4, s6, s18
	s_lshl_b64 s[4:5], s[4:5], 3
	s_add_u32 s17, s30, s4
	s_addc_u32 s33, s31, s5
	v_add_co_u32_e32 v12, vcc, s34, v12
	s_mul_i32 s4, s19, s22
	s_mul_i32 s5, s18, s23
	v_addc_co_u32_e32 v13, vcc, 0, v13, vcc
	s_add_i32 s21, s5, s4
	v_mad_u64_u32 v[14:15], s[4:5], s18, v14, v[6:7]
	v_add_co_u32_e32 v12, vcc, 4, v12
	v_add_u32_e32 v15, s21, v15
	v_addc_co_u32_e32 v13, vcc, 0, v13, vcc
	v_mul_lo_u32 v18, s18, v15
	v_mul_lo_u32 v19, s19, v14
	v_mad_u64_u32 v[14:15], s[4:5], s18, v14, 0
	s_mul_i32 s4, s18, s19
	s_mul_hi_u32 s5, s18, s18
	v_cmp_lt_i64_e32 vcc, s[28:29], v[16:17]
	s_add_i32 s5, s5, s4
	v_cndmask_b32_e64 v16, 0, 1, vcc
	s_mov_b32 s20, 0
	v_cmp_gt_u64_e64 s[0:1], s[18:19], v[0:1]
	v_cmp_eq_u32_e64 s[2:3], 7, v0
	v_xor_b32_e32 v8, 0x80000000, v3
	v_xor_b32_e32 v10, 0x80000000, v5
	v_mov_b32_e32 v9, v2
	v_mov_b32_e32 v11, v4
	s_lshl_b64 s[6:7], s[18:19], 3
	v_add3_u32 v15, v15, v18, v19
	s_add_i32 s38, s5, s4
	s_mul_i32 s39, s18, s18
	v_cmp_ne_u32_e64 s[4:5], 1, v16
	s_branch .LBB30_14
.LBB30_13:                              ;   in Loop: Header=BB30_14 Depth=1
	s_or_b64 exec, exec, s[28:29]
	v_add_co_u32_e32 v6, vcc, 8, v6
	v_addc_co_u32_e32 v7, vcc, 0, v7, vcc
	v_cmp_le_i64_e32 vcc, s[18:19], v[6:7]
	v_mov_b32_e32 v16, s7
	s_or_b64 s[8:9], vcc, s[8:9]
	v_add_co_u32_e32 v14, vcc, s6, v14
	v_addc_co_u32_e32 v15, vcc, v15, v16, vcc
	s_andn2_b64 exec, exec, s[8:9]
	s_cbranch_execz .LBB30_30
.LBB30_14:                              ; =>This Loop Header: Depth=1
                                        ;     Child Loop BB30_18 Depth 2
                                        ;       Child Loop BB30_21 Depth 3
	s_mov_b32 s21, s20
	s_and_b64 vcc, exec, s[4:5]
	v_pk_mov_b32 v[16:17], s[20:21], s[20:21] op_sel:[0,1]
	s_cbranch_vccnz .LBB30_25
; %bb.15:                               ;   in Loop: Header=BB30_14 Depth=1
	v_pk_mov_b32 v[16:17], s[20:21], s[20:21] op_sel:[0,1]
	v_pk_mov_b32 v[18:19], v[14:15], v[14:15] op_sel:[0,1]
	s_mov_b64 s[28:29], s[22:23]
	s_branch .LBB30_18
.LBB30_16:                              ;   in Loop: Header=BB30_18 Depth=2
	s_or_b64 exec, exec, s[34:35]
.LBB30_17:                              ;   in Loop: Header=BB30_18 Depth=2
	s_or_b64 exec, exec, s[30:31]
	s_add_u32 s28, s28, 1
	v_mov_b32_e32 v20, s38
	v_add_co_u32_e32 v18, vcc, s39, v18
	s_addc_u32 s29, s29, 0
	v_addc_co_u32_e32 v19, vcc, v19, v20, vcc
	v_pk_mov_b32 v[20:21], s[10:11], s[10:11] op_sel:[0,1]
	v_cmp_ge_i64_e32 vcc, s[28:29], v[20:21]
	s_cbranch_vccnz .LBB30_25
.LBB30_18:                              ;   Parent Loop BB30_14 Depth=1
                                        ; =>  This Loop Header: Depth=2
                                        ;       Child Loop BB30_21 Depth 3
	s_and_saveexec_b64 s[30:31], s[0:1]
	s_cbranch_execz .LBB30_17
; %bb.19:                               ;   in Loop: Header=BB30_18 Depth=2
	s_lshl_b64 s[34:35], s[28:29], 3
	s_add_u32 s34, s12, s34
	s_addc_u32 s35, s13, s35
	s_load_dwordx2 s[34:35], s[34:35], 0x0
	s_mul_i32 s21, s28, s19
	s_mul_hi_u32 s36, s28, s18
	s_mul_i32 s37, s29, s18
	s_mul_i32 s40, s28, s18
	s_waitcnt lgkmcnt(0)
	s_sub_u32 s34, s34, s16
	s_subb_u32 s35, s35, 0
	s_add_i32 s21, s36, s21
	s_mul_i32 s36, s7, s34
	s_mul_i32 s35, s6, s35
	v_mov_b32_e32 v20, s34
	s_add_i32 s36, s35, s36
	v_mad_u64_u32 v[20:21], s[34:35], s6, v20, v[12:13]
	s_add_i32 s21, s21, s37
	v_add_u32_e32 v21, s36, v21
	s_mov_b64 s[34:35], 0
	v_pk_mov_b32 v[22:23], v[0:1], v[0:1] op_sel:[0,1]
	s_branch .LBB30_21
.LBB30_20:                              ;   in Loop: Header=BB30_21 Depth=3
	v_lshlrev_b64 v[24:25], 3, v[24:25]
	v_mov_b32_e32 v26, s15
	v_add_co_u32_e32 v24, vcc, s14, v24
	v_addc_co_u32_e32 v25, vcc, v26, v25, vcc
	global_load_dwordx2 v[26:27], v[20:21], off offset:-4
	global_load_dwordx2 v[28:29], v[24:25], off
	v_add_co_u32_e32 v22, vcc, 8, v22
	v_addc_co_u32_e32 v23, vcc, 0, v23, vcc
	v_cmp_le_i64_e32 vcc, s[18:19], v[22:23]
	s_or_b64 s[34:35], vcc, s[34:35]
	v_add_co_u32_e32 v20, vcc, 64, v20
	v_addc_co_u32_e32 v21, vcc, 0, v21, vcc
	s_waitcnt vmcnt(0)
	v_pk_fma_f32 v[16:17], v[28:29], v[26:27], v[16:17] op_sel_hi:[1,0,1]
	v_pk_fma_f32 v[16:17], v[28:29], v[26:27], v[16:17] op_sel:[1,1,0] op_sel_hi:[0,1,1] neg_lo:[1,0,0]
	s_andn2_b64 exec, exec, s[34:35]
	s_cbranch_execz .LBB30_16
.LBB30_21:                              ;   Parent Loop BB30_14 Depth=1
                                        ;     Parent Loop BB30_18 Depth=2
                                        ; =>    This Inner Loop Header: Depth=3
	s_and_b64 vcc, exec, s[24:25]
	s_cbranch_vccz .LBB30_23
; %bb.22:                               ;   in Loop: Header=BB30_21 Depth=3
	v_mov_b32_e32 v24, s21
	v_add_co_u32_e32 v25, vcc, s40, v22
	v_addc_co_u32_e32 v24, vcc, v23, v24, vcc
	v_mul_lo_u32 v26, v25, s19
	v_mul_lo_u32 v27, v24, s18
	v_mad_u64_u32 v[24:25], s[36:37], v25, s18, v[6:7]
	v_add3_u32 v25, v27, v25, v26
	s_cbranch_execnz .LBB30_20
	s_branch .LBB30_24
.LBB30_23:                              ;   in Loop: Header=BB30_21 Depth=3
                                        ; implicit-def: $vgpr24_vgpr25
.LBB30_24:                              ;   in Loop: Header=BB30_21 Depth=3
	v_add_co_u32_e32 v24, vcc, v18, v22
	v_addc_co_u32_e32 v25, vcc, v19, v23, vcc
	s_branch .LBB30_20
.LBB30_25:                              ;   in Loop: Header=BB30_14 Depth=1
	s_nop 0
	v_mov_b32_dpp v18, v16 row_shr:1 row_mask:0xf bank_mask:0xf
	v_mov_b32_dpp v19, v17 row_shr:1 row_mask:0xf bank_mask:0xf
	v_add_f32_e32 v16, v16, v18
	v_add_f32_e32 v17, v17, v19
	s_nop 0
	v_mov_b32_dpp v18, v16 row_shr:2 row_mask:0xf bank_mask:0xf
	v_mov_b32_dpp v19, v17 row_shr:2 row_mask:0xf bank_mask:0xf
	v_add_f32_e32 v16, v16, v18
	v_add_f32_e32 v17, v17, v19
	s_nop 0
	v_mov_b32_dpp v18, v16 row_shr:4 row_mask:0xf bank_mask:0xe
	v_mov_b32_dpp v19, v17 row_shr:4 row_mask:0xf bank_mask:0xe
	s_and_saveexec_b64 s[28:29], s[2:3]
	s_cbranch_execz .LBB30_13
; %bb.26:                               ;   in Loop: Header=BB30_14 Depth=1
	v_add_f32_e32 v16, v16, v18
	v_add_f32_e32 v18, v17, v19
	v_lshlrev_b64 v[20:21], 3, v[6:7]
	s_and_saveexec_b64 s[30:31], s[26:27]
	s_xor_b64 s[30:31], exec, s[30:31]
	s_cbranch_execz .LBB30_28
; %bb.27:                               ;   in Loop: Header=BB30_14 Depth=1
	v_mov_b32_e32 v17, s33
	v_add_co_u32_e32 v20, vcc, s17, v20
	v_pk_mul_f32 v[18:19], v[18:19], v[8:9] op_sel_hi:[0,1]
	v_addc_co_u32_e32 v21, vcc, v17, v21, vcc
	v_pk_fma_f32 v[16:17], v[2:3], v[16:17], v[18:19] op_sel_hi:[1,0,1]
	global_store_dwordx2 v[20:21], v[16:17], off
                                        ; implicit-def: $vgpr20_vgpr21
                                        ; implicit-def: $vgpr18
                                        ; implicit-def: $vgpr16
.LBB30_28:                              ;   in Loop: Header=BB30_14 Depth=1
	s_andn2_saveexec_b64 s[30:31], s[30:31]
	s_cbranch_execz .LBB30_13
; %bb.29:                               ;   in Loop: Header=BB30_14 Depth=1
	v_mov_b32_e32 v17, s33
	v_add_co_u32_e32 v20, vcc, s17, v20
	v_addc_co_u32_e32 v21, vcc, v17, v21, vcc
	global_load_dwordx2 v[22:23], v[20:21], off
	v_pk_mul_f32 v[18:19], v[18:19], v[8:9] op_sel_hi:[0,1]
	v_pk_fma_f32 v[16:17], v[2:3], v[16:17], v[18:19] op_sel_hi:[1,0,1]
	s_waitcnt vmcnt(0)
	v_pk_fma_f32 v[16:17], v[4:5], v[22:23], v[16:17] op_sel_hi:[1,0,1]
	v_pk_fma_f32 v[16:17], v[10:11], v[22:23], v[16:17] op_sel:[0,1,0]
	global_store_dwordx2 v[20:21], v[16:17], off
	s_branch .LBB30_13
.LBB30_30:
	s_endpgm
.LBB30_31:
	v_pk_mov_b32 v[4:5], s[8:9], s[8:9] op_sel:[0,1]
	flat_load_dword v3, v[4:5] offset:4
	s_and_b64 vcc, exec, s[0:1]
	v_mov_b32_e32 v4, s2
	s_cbranch_vccnz .LBB30_4
.LBB30_32:
	v_pk_mov_b32 v[4:5], s[2:3], s[2:3] op_sel:[0,1]
	flat_load_dword v4, v[4:5]
	s_and_b64 vcc, exec, s[0:1]
	v_mov_b32_e32 v5, s3
	s_cbranch_vccz .LBB30_5
	s_branch .LBB30_6
	.section	.rodata,"a",@progbits
	.p2align	6, 0x0
	.amdhsa_kernel _ZN9rocsparseL22bsrxmvn_general_kernelILj64ELj8E21rocsparse_complex_numIfEllS2_S2_S2_EEv20rocsparse_direction_NS_24const_host_device_scalarIT1_EET3_PKS7_PKT2_SC_S9_PKT4_S7_PKT5_S6_PT6_21rocsparse_index_base_b
		.amdhsa_group_segment_fixed_size 0
		.amdhsa_private_segment_fixed_size 0
		.amdhsa_kernarg_size 104
		.amdhsa_user_sgpr_count 6
		.amdhsa_user_sgpr_private_segment_buffer 1
		.amdhsa_user_sgpr_dispatch_ptr 0
		.amdhsa_user_sgpr_queue_ptr 0
		.amdhsa_user_sgpr_kernarg_segment_ptr 1
		.amdhsa_user_sgpr_dispatch_id 0
		.amdhsa_user_sgpr_flat_scratch_init 0
		.amdhsa_user_sgpr_kernarg_preload_length 0
		.amdhsa_user_sgpr_kernarg_preload_offset 0
		.amdhsa_user_sgpr_private_segment_size 0
		.amdhsa_uses_dynamic_stack 0
		.amdhsa_system_sgpr_private_segment_wavefront_offset 0
		.amdhsa_system_sgpr_workgroup_id_x 1
		.amdhsa_system_sgpr_workgroup_id_y 0
		.amdhsa_system_sgpr_workgroup_id_z 0
		.amdhsa_system_sgpr_workgroup_info 0
		.amdhsa_system_vgpr_workitem_id 0
		.amdhsa_next_free_vgpr 30
		.amdhsa_next_free_sgpr 41
		.amdhsa_accum_offset 32
		.amdhsa_reserve_vcc 1
		.amdhsa_reserve_flat_scratch 0
		.amdhsa_float_round_mode_32 0
		.amdhsa_float_round_mode_16_64 0
		.amdhsa_float_denorm_mode_32 3
		.amdhsa_float_denorm_mode_16_64 3
		.amdhsa_dx10_clamp 1
		.amdhsa_ieee_mode 1
		.amdhsa_fp16_overflow 0
		.amdhsa_tg_split 0
		.amdhsa_exception_fp_ieee_invalid_op 0
		.amdhsa_exception_fp_denorm_src 0
		.amdhsa_exception_fp_ieee_div_zero 0
		.amdhsa_exception_fp_ieee_overflow 0
		.amdhsa_exception_fp_ieee_underflow 0
		.amdhsa_exception_fp_ieee_inexact 0
		.amdhsa_exception_int_div_zero 0
	.end_amdhsa_kernel
	.section	.text._ZN9rocsparseL22bsrxmvn_general_kernelILj64ELj8E21rocsparse_complex_numIfEllS2_S2_S2_EEv20rocsparse_direction_NS_24const_host_device_scalarIT1_EET3_PKS7_PKT2_SC_S9_PKT4_S7_PKT5_S6_PT6_21rocsparse_index_base_b,"axG",@progbits,_ZN9rocsparseL22bsrxmvn_general_kernelILj64ELj8E21rocsparse_complex_numIfEllS2_S2_S2_EEv20rocsparse_direction_NS_24const_host_device_scalarIT1_EET3_PKS7_PKT2_SC_S9_PKT4_S7_PKT5_S6_PT6_21rocsparse_index_base_b,comdat
.Lfunc_end30:
	.size	_ZN9rocsparseL22bsrxmvn_general_kernelILj64ELj8E21rocsparse_complex_numIfEllS2_S2_S2_EEv20rocsparse_direction_NS_24const_host_device_scalarIT1_EET3_PKS7_PKT2_SC_S9_PKT4_S7_PKT5_S6_PT6_21rocsparse_index_base_b, .Lfunc_end30-_ZN9rocsparseL22bsrxmvn_general_kernelILj64ELj8E21rocsparse_complex_numIfEllS2_S2_S2_EEv20rocsparse_direction_NS_24const_host_device_scalarIT1_EET3_PKS7_PKT2_SC_S9_PKT4_S7_PKT5_S6_PT6_21rocsparse_index_base_b
                                        ; -- End function
	.section	.AMDGPU.csdata,"",@progbits
; Kernel info:
; codeLenInByte = 1364
; NumSgprs: 45
; NumVgprs: 30
; NumAgprs: 0
; TotalNumVgprs: 30
; ScratchSize: 0
; MemoryBound: 0
; FloatMode: 240
; IeeeMode: 1
; LDSByteSize: 0 bytes/workgroup (compile time only)
; SGPRBlocks: 5
; VGPRBlocks: 3
; NumSGPRsForWavesPerEU: 45
; NumVGPRsForWavesPerEU: 30
; AccumOffset: 32
; Occupancy: 8
; WaveLimiterHint : 1
; COMPUTE_PGM_RSRC2:SCRATCH_EN: 0
; COMPUTE_PGM_RSRC2:USER_SGPR: 6
; COMPUTE_PGM_RSRC2:TRAP_HANDLER: 0
; COMPUTE_PGM_RSRC2:TGID_X_EN: 1
; COMPUTE_PGM_RSRC2:TGID_Y_EN: 0
; COMPUTE_PGM_RSRC2:TGID_Z_EN: 0
; COMPUTE_PGM_RSRC2:TIDIG_COMP_CNT: 0
; COMPUTE_PGM_RSRC3_GFX90A:ACCUM_OFFSET: 7
; COMPUTE_PGM_RSRC3_GFX90A:TG_SPLIT: 0
	.section	.text._ZN9rocsparseL22bsrxmvn_general_kernelILj256ELj16E21rocsparse_complex_numIfEllS2_S2_S2_EEv20rocsparse_direction_NS_24const_host_device_scalarIT1_EET3_PKS7_PKT2_SC_S9_PKT4_S7_PKT5_S6_PT6_21rocsparse_index_base_b,"axG",@progbits,_ZN9rocsparseL22bsrxmvn_general_kernelILj256ELj16E21rocsparse_complex_numIfEllS2_S2_S2_EEv20rocsparse_direction_NS_24const_host_device_scalarIT1_EET3_PKS7_PKT2_SC_S9_PKT4_S7_PKT5_S6_PT6_21rocsparse_index_base_b,comdat
	.globl	_ZN9rocsparseL22bsrxmvn_general_kernelILj256ELj16E21rocsparse_complex_numIfEllS2_S2_S2_EEv20rocsparse_direction_NS_24const_host_device_scalarIT1_EET3_PKS7_PKT2_SC_S9_PKT4_S7_PKT5_S6_PT6_21rocsparse_index_base_b ; -- Begin function _ZN9rocsparseL22bsrxmvn_general_kernelILj256ELj16E21rocsparse_complex_numIfEllS2_S2_S2_EEv20rocsparse_direction_NS_24const_host_device_scalarIT1_EET3_PKS7_PKT2_SC_S9_PKT4_S7_PKT5_S6_PT6_21rocsparse_index_base_b
	.p2align	8
	.type	_ZN9rocsparseL22bsrxmvn_general_kernelILj256ELj16E21rocsparse_complex_numIfEllS2_S2_S2_EEv20rocsparse_direction_NS_24const_host_device_scalarIT1_EET3_PKS7_PKT2_SC_S9_PKT4_S7_PKT5_S6_PT6_21rocsparse_index_base_b,@function
_ZN9rocsparseL22bsrxmvn_general_kernelILj256ELj16E21rocsparse_complex_numIfEllS2_S2_S2_EEv20rocsparse_direction_NS_24const_host_device_scalarIT1_EET3_PKS7_PKT2_SC_S9_PKT4_S7_PKT5_S6_PT6_21rocsparse_index_base_b: ; @_ZN9rocsparseL22bsrxmvn_general_kernelILj256ELj16E21rocsparse_complex_numIfEllS2_S2_S2_EEv20rocsparse_direction_NS_24const_host_device_scalarIT1_EET3_PKS7_PKT2_SC_S9_PKT4_S7_PKT5_S6_PT6_21rocsparse_index_base_b
; %bb.0:
	s_load_dwordx2 s[16:17], s[4:5], 0x60
	s_load_dwordx2 s[8:9], s[4:5], 0x8
	s_load_dwordx2 s[2:3], s[4:5], 0x50
	s_waitcnt lgkmcnt(0)
	s_bitcmp1_b32 s17, 0
	s_cselect_b64 s[0:1], -1, 0
	s_xor_b64 s[10:11], s[0:1], -1
	s_and_b64 vcc, exec, s[0:1]
	v_mov_b32_e32 v2, s8
	s_cbranch_vccnz .LBB31_2
; %bb.1:
	v_pk_mov_b32 v[2:3], s[8:9], s[8:9] op_sel:[0,1]
	flat_load_dword v2, v[2:3]
.LBB31_2:
	v_cndmask_b32_e64 v1, 0, 1, s[10:11]
	v_cmp_ne_u32_e64 s[0:1], 1, v1
	s_andn2_b64 vcc, exec, s[10:11]
	v_mov_b32_e32 v3, s9
	s_cbranch_vccz .LBB31_31
; %bb.3:
	s_and_b64 vcc, exec, s[0:1]
	v_mov_b32_e32 v4, s2
	s_cbranch_vccz .LBB31_32
.LBB31_4:
	s_and_b64 vcc, exec, s[0:1]
	v_mov_b32_e32 v5, s3
	s_cbranch_vccnz .LBB31_6
.LBB31_5:
	v_pk_mov_b32 v[6:7], s[2:3], s[2:3] op_sel:[0,1]
	flat_load_dword v5, v[6:7] offset:4
.LBB31_6:
	s_waitcnt vmcnt(0) lgkmcnt(0)
	v_and_b32_e32 v1, 0x7fffffff, v2
	v_cmp_eq_u32_e32 vcc, 0, v1
	v_cmp_eq_f32_e64 s[0:1], 0, v3
	s_and_b64 s[8:9], vcc, s[0:1]
	s_mov_b64 s[0:1], -1
	s_and_saveexec_b64 s[2:3], s[8:9]
; %bb.7:
	v_and_b32_e32 v1, 0x7fffffff, v5
	v_cmp_neq_f32_e32 vcc, 1.0, v4
	v_cmp_ne_u32_e64 s[0:1], 0, v1
	s_or_b64 s[0:1], vcc, s[0:1]
	s_orn2_b64 s[0:1], s[0:1], exec
; %bb.8:
	s_or_b64 exec, exec, s[2:3]
	s_and_saveexec_b64 s[2:3], s[0:1]
	s_cbranch_execz .LBB31_30
; %bb.9:
	s_load_dwordx2 s[0:1], s[4:5], 0x18
	s_mov_b32 s7, 0
	s_waitcnt lgkmcnt(0)
	s_cmp_eq_u64 s[0:1], 0
	s_cbranch_scc1 .LBB31_11
; %bb.10:
	s_lshl_b64 s[2:3], s[6:7], 3
	s_add_u32 s0, s0, s2
	s_addc_u32 s1, s1, s3
	s_load_dwordx2 s[0:1], s[0:1], 0x0
	s_waitcnt lgkmcnt(0)
	s_sub_u32 s6, s0, s16
	s_subb_u32 s7, s1, 0
.LBB31_11:
	s_load_dwordx2 s[18:19], s[4:5], 0x40
	v_lshrrev_b32_e32 v6, 4, v0
	v_mov_b32_e32 v7, 0
	s_waitcnt lgkmcnt(0)
	v_cmp_gt_i64_e32 vcc, s[18:19], v[6:7]
	s_and_b64 exec, exec, vcc
	s_cbranch_execz .LBB31_30
; %bb.12:
	s_load_dwordx8 s[8:15], s[4:5], 0x20
	s_lshl_b64 s[0:1], s[6:7], 3
	v_and_b32_e32 v8, 0x7fffffff, v4
	v_cmp_eq_u32_e32 vcc, 0, v8
	v_and_b32_e32 v0, 15, v0
	s_waitcnt lgkmcnt(0)
	s_add_u32 s2, s8, s0
	s_addc_u32 s3, s9, s1
	s_load_dwordx2 s[34:35], s[2:3], 0x0
	s_load_dwordx2 s[28:29], s[4:5], 0x58
	;; [unrolled: 1-line block ×3, first 2 shown]
	v_lshlrev_b32_e32 v12, 3, v0
	s_load_dword s4, s[4:5], 0x0
	s_waitcnt lgkmcnt(0)
	s_sub_u32 s22, s34, s16
	s_subb_u32 s23, s35, 0
	s_add_u32 s2, s2, 8
	s_addc_u32 s3, s3, 0
	s_add_u32 s0, s10, s0
	s_addc_u32 s1, s11, s1
	s_cmp_eq_u64 s[10:11], 0
	s_cselect_b32 s1, s3, s1
	s_cselect_b32 s0, s2, s0
	s_load_dwordx2 s[24:25], s[0:1], 0x0
	v_mov_b32_e32 v13, s31
	v_mov_b32_e32 v14, s22
	;; [unrolled: 1-line block ×3, first 2 shown]
	s_mov_b64 s[8:9], 0
	s_waitcnt lgkmcnt(0)
	s_sub_u32 s10, s24, s16
	s_subb_u32 s11, s25, 0
	s_cmp_lg_u32 s4, 0
	v_cmp_eq_f32_e64 s[4:5], 0, v5
	v_pk_mov_b32 v[16:17], s[24:25], s[24:25] op_sel:[0,1]
	s_cselect_b64 s[24:25], -1, 0
	s_and_b64 s[26:27], vcc, s[4:5]
	s_mul_i32 s4, s6, s19
	s_mul_hi_u32 s5, s6, s18
	s_add_i32 s4, s5, s4
	s_mul_i32 s5, s7, s18
	s_add_i32 s5, s4, s5
	s_mul_i32 s4, s6, s18
	s_lshl_b64 s[4:5], s[4:5], 3
	s_add_u32 s17, s28, s4
	s_addc_u32 s33, s29, s5
	v_add_co_u32_e32 v12, vcc, s30, v12
	s_mul_i32 s4, s19, s22
	s_mul_i32 s5, s18, s23
	v_addc_co_u32_e32 v13, vcc, 0, v13, vcc
	s_add_i32 s6, s5, s4
	v_mad_u64_u32 v[14:15], s[4:5], s18, v14, v[6:7]
	v_add_co_u32_e32 v12, vcc, 4, v12
	v_add_u32_e32 v15, s6, v15
	v_addc_co_u32_e32 v13, vcc, 0, v13, vcc
	v_mul_lo_u32 v18, s18, v15
	v_mul_lo_u32 v19, s19, v14
	v_mad_u64_u32 v[14:15], s[4:5], s18, v14, 0
	s_mul_i32 s4, s18, s19
	s_mul_hi_u32 s5, s18, s18
	v_cmp_lt_i64_e32 vcc, s[34:35], v[16:17]
	s_add_i32 s5, s5, s4
	v_cndmask_b32_e64 v16, 0, 1, vcc
	s_mov_b32 s20, 0
	v_cmp_gt_u64_e64 s[0:1], s[18:19], v[0:1]
	v_cmp_eq_u32_e64 s[2:3], 15, v0
	v_xor_b32_e32 v8, 0x80000000, v3
	v_xor_b32_e32 v10, 0x80000000, v5
	v_mov_b32_e32 v9, v2
	v_mov_b32_e32 v11, v4
	s_lshl_b64 s[28:29], s[18:19], 3
	v_add3_u32 v15, v15, v18, v19
	s_lshl_b64 s[30:31], s[18:19], 4
	s_add_i32 s40, s5, s4
	s_mul_i32 s41, s18, s18
	v_cmp_ne_u32_e64 s[4:5], 1, v16
	s_branch .LBB31_14
.LBB31_13:                              ;   in Loop: Header=BB31_14 Depth=1
	s_or_b64 exec, exec, s[6:7]
	v_add_co_u32_e32 v6, vcc, 16, v6
	v_addc_co_u32_e32 v7, vcc, 0, v7, vcc
	v_cmp_le_i64_e32 vcc, s[18:19], v[6:7]
	v_mov_b32_e32 v16, s31
	s_or_b64 s[8:9], vcc, s[8:9]
	v_add_co_u32_e32 v14, vcc, s30, v14
	v_addc_co_u32_e32 v15, vcc, v15, v16, vcc
	s_andn2_b64 exec, exec, s[8:9]
	s_cbranch_execz .LBB31_30
.LBB31_14:                              ; =>This Loop Header: Depth=1
                                        ;     Child Loop BB31_18 Depth 2
                                        ;       Child Loop BB31_21 Depth 3
	s_mov_b32 s21, s20
	s_and_b64 vcc, exec, s[4:5]
	v_pk_mov_b32 v[16:17], s[20:21], s[20:21] op_sel:[0,1]
	s_cbranch_vccnz .LBB31_25
; %bb.15:                               ;   in Loop: Header=BB31_14 Depth=1
	v_pk_mov_b32 v[16:17], s[20:21], s[20:21] op_sel:[0,1]
	v_pk_mov_b32 v[18:19], v[14:15], v[14:15] op_sel:[0,1]
	s_mov_b64 s[34:35], s[22:23]
	s_branch .LBB31_18
.LBB31_16:                              ;   in Loop: Header=BB31_18 Depth=2
	s_or_b64 exec, exec, s[38:39]
.LBB31_17:                              ;   in Loop: Header=BB31_18 Depth=2
	s_or_b64 exec, exec, s[36:37]
	s_add_u32 s34, s34, 1
	v_mov_b32_e32 v20, s40
	v_add_co_u32_e32 v18, vcc, s41, v18
	s_addc_u32 s35, s35, 0
	v_addc_co_u32_e32 v19, vcc, v19, v20, vcc
	v_pk_mov_b32 v[20:21], s[10:11], s[10:11] op_sel:[0,1]
	v_cmp_ge_i64_e32 vcc, s[34:35], v[20:21]
	s_cbranch_vccnz .LBB31_25
.LBB31_18:                              ;   Parent Loop BB31_14 Depth=1
                                        ; =>  This Loop Header: Depth=2
                                        ;       Child Loop BB31_21 Depth 3
	s_and_saveexec_b64 s[36:37], s[0:1]
	s_cbranch_execz .LBB31_17
; %bb.19:                               ;   in Loop: Header=BB31_18 Depth=2
	s_lshl_b64 s[6:7], s[34:35], 3
	s_add_u32 s6, s12, s6
	s_addc_u32 s7, s13, s7
	s_load_dwordx2 s[6:7], s[6:7], 0x0
	s_mul_i32 s21, s34, s19
	s_mul_hi_u32 s38, s34, s18
	s_mul_i32 s39, s35, s18
	s_mul_i32 s42, s34, s18
	s_waitcnt lgkmcnt(0)
	s_sub_u32 s6, s6, s16
	s_subb_u32 s7, s7, 0
	s_add_i32 s21, s38, s21
	s_mul_i32 s38, s29, s6
	s_mul_i32 s7, s28, s7
	v_mov_b32_e32 v20, s6
	s_add_i32 s38, s7, s38
	v_mad_u64_u32 v[20:21], s[6:7], s28, v20, v[12:13]
	s_add_i32 s21, s21, s39
	v_add_u32_e32 v21, s38, v21
	s_mov_b64 s[38:39], 0
	v_pk_mov_b32 v[22:23], v[0:1], v[0:1] op_sel:[0,1]
	s_branch .LBB31_21
.LBB31_20:                              ;   in Loop: Header=BB31_21 Depth=3
	v_lshlrev_b64 v[24:25], 3, v[24:25]
	v_mov_b32_e32 v26, s15
	v_add_co_u32_e32 v24, vcc, s14, v24
	v_addc_co_u32_e32 v25, vcc, v26, v25, vcc
	global_load_dwordx2 v[26:27], v[20:21], off offset:-4
	global_load_dwordx2 v[28:29], v[24:25], off
	v_add_co_u32_e32 v22, vcc, 16, v22
	v_addc_co_u32_e32 v23, vcc, 0, v23, vcc
	v_add_co_u32_e32 v20, vcc, 0x80, v20
	v_cmp_le_i64_e64 s[6:7], s[18:19], v[22:23]
	s_or_b64 s[38:39], s[6:7], s[38:39]
	v_addc_co_u32_e32 v21, vcc, 0, v21, vcc
	s_waitcnt vmcnt(0)
	v_pk_fma_f32 v[16:17], v[28:29], v[26:27], v[16:17] op_sel_hi:[1,0,1]
	v_pk_fma_f32 v[16:17], v[28:29], v[26:27], v[16:17] op_sel:[1,1,0] op_sel_hi:[0,1,1] neg_lo:[1,0,0]
	s_andn2_b64 exec, exec, s[38:39]
	s_cbranch_execz .LBB31_16
.LBB31_21:                              ;   Parent Loop BB31_14 Depth=1
                                        ;     Parent Loop BB31_18 Depth=2
                                        ; =>    This Inner Loop Header: Depth=3
	s_and_b64 vcc, exec, s[24:25]
	s_cbranch_vccz .LBB31_23
; %bb.22:                               ;   in Loop: Header=BB31_21 Depth=3
	v_mov_b32_e32 v24, s21
	v_add_co_u32_e32 v25, vcc, s42, v22
	v_addc_co_u32_e32 v24, vcc, v23, v24, vcc
	v_mul_lo_u32 v26, v25, s19
	v_mul_lo_u32 v27, v24, s18
	v_mad_u64_u32 v[24:25], s[6:7], v25, s18, v[6:7]
	v_add3_u32 v25, v27, v25, v26
	s_cbranch_execnz .LBB31_20
	s_branch .LBB31_24
.LBB31_23:                              ;   in Loop: Header=BB31_21 Depth=3
                                        ; implicit-def: $vgpr24_vgpr25
.LBB31_24:                              ;   in Loop: Header=BB31_21 Depth=3
	v_add_co_u32_e32 v24, vcc, v18, v22
	v_addc_co_u32_e32 v25, vcc, v19, v23, vcc
	s_branch .LBB31_20
.LBB31_25:                              ;   in Loop: Header=BB31_14 Depth=1
	s_nop 0
	v_mov_b32_dpp v18, v16 row_shr:1 row_mask:0xf bank_mask:0xf
	v_mov_b32_dpp v19, v17 row_shr:1 row_mask:0xf bank_mask:0xf
	v_add_f32_e32 v16, v16, v18
	v_add_f32_e32 v17, v17, v19
	s_nop 0
	v_mov_b32_dpp v18, v16 row_shr:2 row_mask:0xf bank_mask:0xf
	v_mov_b32_dpp v19, v17 row_shr:2 row_mask:0xf bank_mask:0xf
	v_add_f32_e32 v16, v16, v18
	v_add_f32_e32 v17, v17, v19
	;; [unrolled: 5-line block ×3, first 2 shown]
	s_nop 0
	v_mov_b32_dpp v18, v16 row_shr:8 row_mask:0xf bank_mask:0xc
	v_mov_b32_dpp v19, v17 row_shr:8 row_mask:0xf bank_mask:0xc
	s_and_saveexec_b64 s[6:7], s[2:3]
	s_cbranch_execz .LBB31_13
; %bb.26:                               ;   in Loop: Header=BB31_14 Depth=1
	v_add_f32_e32 v16, v16, v18
	v_add_f32_e32 v18, v17, v19
	v_lshlrev_b64 v[20:21], 3, v[6:7]
	s_and_saveexec_b64 s[34:35], s[26:27]
	s_xor_b64 s[34:35], exec, s[34:35]
	s_cbranch_execz .LBB31_28
; %bb.27:                               ;   in Loop: Header=BB31_14 Depth=1
	v_mov_b32_e32 v17, s33
	v_add_co_u32_e32 v20, vcc, s17, v20
	v_pk_mul_f32 v[18:19], v[18:19], v[8:9] op_sel_hi:[0,1]
	v_addc_co_u32_e32 v21, vcc, v17, v21, vcc
	v_pk_fma_f32 v[16:17], v[2:3], v[16:17], v[18:19] op_sel_hi:[1,0,1]
	global_store_dwordx2 v[20:21], v[16:17], off
                                        ; implicit-def: $vgpr20_vgpr21
                                        ; implicit-def: $vgpr18
                                        ; implicit-def: $vgpr16
.LBB31_28:                              ;   in Loop: Header=BB31_14 Depth=1
	s_andn2_saveexec_b64 s[34:35], s[34:35]
	s_cbranch_execz .LBB31_13
; %bb.29:                               ;   in Loop: Header=BB31_14 Depth=1
	v_mov_b32_e32 v17, s33
	v_add_co_u32_e32 v20, vcc, s17, v20
	v_addc_co_u32_e32 v21, vcc, v17, v21, vcc
	global_load_dwordx2 v[22:23], v[20:21], off
	v_pk_mul_f32 v[18:19], v[18:19], v[8:9] op_sel_hi:[0,1]
	v_pk_fma_f32 v[16:17], v[2:3], v[16:17], v[18:19] op_sel_hi:[1,0,1]
	s_waitcnt vmcnt(0)
	v_pk_fma_f32 v[16:17], v[4:5], v[22:23], v[16:17] op_sel_hi:[1,0,1]
	v_pk_fma_f32 v[16:17], v[10:11], v[22:23], v[16:17] op_sel:[0,1,0]
	global_store_dwordx2 v[20:21], v[16:17], off
	s_branch .LBB31_13
.LBB31_30:
	s_endpgm
.LBB31_31:
	v_pk_mov_b32 v[4:5], s[8:9], s[8:9] op_sel:[0,1]
	flat_load_dword v3, v[4:5] offset:4
	s_and_b64 vcc, exec, s[0:1]
	v_mov_b32_e32 v4, s2
	s_cbranch_vccnz .LBB31_4
.LBB31_32:
	v_pk_mov_b32 v[4:5], s[2:3], s[2:3] op_sel:[0,1]
	flat_load_dword v4, v[4:5]
	s_and_b64 vcc, exec, s[0:1]
	v_mov_b32_e32 v5, s3
	s_cbranch_vccz .LBB31_5
	s_branch .LBB31_6
	.section	.rodata,"a",@progbits
	.p2align	6, 0x0
	.amdhsa_kernel _ZN9rocsparseL22bsrxmvn_general_kernelILj256ELj16E21rocsparse_complex_numIfEllS2_S2_S2_EEv20rocsparse_direction_NS_24const_host_device_scalarIT1_EET3_PKS7_PKT2_SC_S9_PKT4_S7_PKT5_S6_PT6_21rocsparse_index_base_b
		.amdhsa_group_segment_fixed_size 0
		.amdhsa_private_segment_fixed_size 0
		.amdhsa_kernarg_size 104
		.amdhsa_user_sgpr_count 6
		.amdhsa_user_sgpr_private_segment_buffer 1
		.amdhsa_user_sgpr_dispatch_ptr 0
		.amdhsa_user_sgpr_queue_ptr 0
		.amdhsa_user_sgpr_kernarg_segment_ptr 1
		.amdhsa_user_sgpr_dispatch_id 0
		.amdhsa_user_sgpr_flat_scratch_init 0
		.amdhsa_user_sgpr_kernarg_preload_length 0
		.amdhsa_user_sgpr_kernarg_preload_offset 0
		.amdhsa_user_sgpr_private_segment_size 0
		.amdhsa_uses_dynamic_stack 0
		.amdhsa_system_sgpr_private_segment_wavefront_offset 0
		.amdhsa_system_sgpr_workgroup_id_x 1
		.amdhsa_system_sgpr_workgroup_id_y 0
		.amdhsa_system_sgpr_workgroup_id_z 0
		.amdhsa_system_sgpr_workgroup_info 0
		.amdhsa_system_vgpr_workitem_id 0
		.amdhsa_next_free_vgpr 30
		.amdhsa_next_free_sgpr 43
		.amdhsa_accum_offset 32
		.amdhsa_reserve_vcc 1
		.amdhsa_reserve_flat_scratch 0
		.amdhsa_float_round_mode_32 0
		.amdhsa_float_round_mode_16_64 0
		.amdhsa_float_denorm_mode_32 3
		.amdhsa_float_denorm_mode_16_64 3
		.amdhsa_dx10_clamp 1
		.amdhsa_ieee_mode 1
		.amdhsa_fp16_overflow 0
		.amdhsa_tg_split 0
		.amdhsa_exception_fp_ieee_invalid_op 0
		.amdhsa_exception_fp_denorm_src 0
		.amdhsa_exception_fp_ieee_div_zero 0
		.amdhsa_exception_fp_ieee_overflow 0
		.amdhsa_exception_fp_ieee_underflow 0
		.amdhsa_exception_fp_ieee_inexact 0
		.amdhsa_exception_int_div_zero 0
	.end_amdhsa_kernel
	.section	.text._ZN9rocsparseL22bsrxmvn_general_kernelILj256ELj16E21rocsparse_complex_numIfEllS2_S2_S2_EEv20rocsparse_direction_NS_24const_host_device_scalarIT1_EET3_PKS7_PKT2_SC_S9_PKT4_S7_PKT5_S6_PT6_21rocsparse_index_base_b,"axG",@progbits,_ZN9rocsparseL22bsrxmvn_general_kernelILj256ELj16E21rocsparse_complex_numIfEllS2_S2_S2_EEv20rocsparse_direction_NS_24const_host_device_scalarIT1_EET3_PKS7_PKT2_SC_S9_PKT4_S7_PKT5_S6_PT6_21rocsparse_index_base_b,comdat
.Lfunc_end31:
	.size	_ZN9rocsparseL22bsrxmvn_general_kernelILj256ELj16E21rocsparse_complex_numIfEllS2_S2_S2_EEv20rocsparse_direction_NS_24const_host_device_scalarIT1_EET3_PKS7_PKT2_SC_S9_PKT4_S7_PKT5_S6_PT6_21rocsparse_index_base_b, .Lfunc_end31-_ZN9rocsparseL22bsrxmvn_general_kernelILj256ELj16E21rocsparse_complex_numIfEllS2_S2_S2_EEv20rocsparse_direction_NS_24const_host_device_scalarIT1_EET3_PKS7_PKT2_SC_S9_PKT4_S7_PKT5_S6_PT6_21rocsparse_index_base_b
                                        ; -- End function
	.section	.AMDGPU.csdata,"",@progbits
; Kernel info:
; codeLenInByte = 1404
; NumSgprs: 47
; NumVgprs: 30
; NumAgprs: 0
; TotalNumVgprs: 30
; ScratchSize: 0
; MemoryBound: 0
; FloatMode: 240
; IeeeMode: 1
; LDSByteSize: 0 bytes/workgroup (compile time only)
; SGPRBlocks: 5
; VGPRBlocks: 3
; NumSGPRsForWavesPerEU: 47
; NumVGPRsForWavesPerEU: 30
; AccumOffset: 32
; Occupancy: 8
; WaveLimiterHint : 1
; COMPUTE_PGM_RSRC2:SCRATCH_EN: 0
; COMPUTE_PGM_RSRC2:USER_SGPR: 6
; COMPUTE_PGM_RSRC2:TRAP_HANDLER: 0
; COMPUTE_PGM_RSRC2:TGID_X_EN: 1
; COMPUTE_PGM_RSRC2:TGID_Y_EN: 0
; COMPUTE_PGM_RSRC2:TGID_Z_EN: 0
; COMPUTE_PGM_RSRC2:TIDIG_COMP_CNT: 0
; COMPUTE_PGM_RSRC3_GFX90A:ACCUM_OFFSET: 7
; COMPUTE_PGM_RSRC3_GFX90A:TG_SPLIT: 0
	.section	.text._ZN9rocsparseL22bsrxmvn_general_kernelILj1024ELj32E21rocsparse_complex_numIfEllS2_S2_S2_EEv20rocsparse_direction_NS_24const_host_device_scalarIT1_EET3_PKS7_PKT2_SC_S9_PKT4_S7_PKT5_S6_PT6_21rocsparse_index_base_b,"axG",@progbits,_ZN9rocsparseL22bsrxmvn_general_kernelILj1024ELj32E21rocsparse_complex_numIfEllS2_S2_S2_EEv20rocsparse_direction_NS_24const_host_device_scalarIT1_EET3_PKS7_PKT2_SC_S9_PKT4_S7_PKT5_S6_PT6_21rocsparse_index_base_b,comdat
	.globl	_ZN9rocsparseL22bsrxmvn_general_kernelILj1024ELj32E21rocsparse_complex_numIfEllS2_S2_S2_EEv20rocsparse_direction_NS_24const_host_device_scalarIT1_EET3_PKS7_PKT2_SC_S9_PKT4_S7_PKT5_S6_PT6_21rocsparse_index_base_b ; -- Begin function _ZN9rocsparseL22bsrxmvn_general_kernelILj1024ELj32E21rocsparse_complex_numIfEllS2_S2_S2_EEv20rocsparse_direction_NS_24const_host_device_scalarIT1_EET3_PKS7_PKT2_SC_S9_PKT4_S7_PKT5_S6_PT6_21rocsparse_index_base_b
	.p2align	8
	.type	_ZN9rocsparseL22bsrxmvn_general_kernelILj1024ELj32E21rocsparse_complex_numIfEllS2_S2_S2_EEv20rocsparse_direction_NS_24const_host_device_scalarIT1_EET3_PKS7_PKT2_SC_S9_PKT4_S7_PKT5_S6_PT6_21rocsparse_index_base_b,@function
_ZN9rocsparseL22bsrxmvn_general_kernelILj1024ELj32E21rocsparse_complex_numIfEllS2_S2_S2_EEv20rocsparse_direction_NS_24const_host_device_scalarIT1_EET3_PKS7_PKT2_SC_S9_PKT4_S7_PKT5_S6_PT6_21rocsparse_index_base_b: ; @_ZN9rocsparseL22bsrxmvn_general_kernelILj1024ELj32E21rocsparse_complex_numIfEllS2_S2_S2_EEv20rocsparse_direction_NS_24const_host_device_scalarIT1_EET3_PKS7_PKT2_SC_S9_PKT4_S7_PKT5_S6_PT6_21rocsparse_index_base_b
; %bb.0:
	s_load_dwordx2 s[16:17], s[4:5], 0x60
	s_load_dwordx2 s[8:9], s[4:5], 0x8
	;; [unrolled: 1-line block ×3, first 2 shown]
	s_waitcnt lgkmcnt(0)
	s_bitcmp1_b32 s17, 0
	s_cselect_b64 s[0:1], -1, 0
	s_xor_b64 s[10:11], s[0:1], -1
	s_and_b64 vcc, exec, s[0:1]
	v_mov_b32_e32 v2, s8
	s_cbranch_vccnz .LBB32_2
; %bb.1:
	v_pk_mov_b32 v[2:3], s[8:9], s[8:9] op_sel:[0,1]
	flat_load_dword v2, v[2:3]
.LBB32_2:
	v_cndmask_b32_e64 v1, 0, 1, s[10:11]
	v_cmp_ne_u32_e64 s[0:1], 1, v1
	s_andn2_b64 vcc, exec, s[10:11]
	v_mov_b32_e32 v3, s9
	s_cbranch_vccz .LBB32_31
; %bb.3:
	s_and_b64 vcc, exec, s[0:1]
	v_mov_b32_e32 v4, s2
	s_cbranch_vccz .LBB32_32
.LBB32_4:
	s_and_b64 vcc, exec, s[0:1]
	v_mov_b32_e32 v5, s3
	s_cbranch_vccnz .LBB32_6
.LBB32_5:
	v_pk_mov_b32 v[6:7], s[2:3], s[2:3] op_sel:[0,1]
	flat_load_dword v5, v[6:7] offset:4
.LBB32_6:
	s_waitcnt vmcnt(0) lgkmcnt(0)
	v_and_b32_e32 v1, 0x7fffffff, v2
	v_cmp_eq_u32_e32 vcc, 0, v1
	v_cmp_eq_f32_e64 s[0:1], 0, v3
	s_and_b64 s[8:9], vcc, s[0:1]
	s_mov_b64 s[0:1], -1
	s_and_saveexec_b64 s[2:3], s[8:9]
; %bb.7:
	v_and_b32_e32 v1, 0x7fffffff, v5
	v_cmp_neq_f32_e32 vcc, 1.0, v4
	v_cmp_ne_u32_e64 s[0:1], 0, v1
	s_or_b64 s[0:1], vcc, s[0:1]
	s_orn2_b64 s[0:1], s[0:1], exec
; %bb.8:
	s_or_b64 exec, exec, s[2:3]
	s_and_saveexec_b64 s[2:3], s[0:1]
	s_cbranch_execz .LBB32_30
; %bb.9:
	s_load_dwordx2 s[0:1], s[4:5], 0x18
	s_mov_b32 s7, 0
	s_waitcnt lgkmcnt(0)
	s_cmp_eq_u64 s[0:1], 0
	s_cbranch_scc1 .LBB32_11
; %bb.10:
	s_lshl_b64 s[2:3], s[6:7], 3
	s_add_u32 s0, s0, s2
	s_addc_u32 s1, s1, s3
	s_load_dwordx2 s[0:1], s[0:1], 0x0
	s_waitcnt lgkmcnt(0)
	s_sub_u32 s6, s0, s16
	s_subb_u32 s7, s1, 0
.LBB32_11:
	s_load_dwordx2 s[18:19], s[4:5], 0x40
	v_lshrrev_b32_e32 v6, 5, v0
	v_mov_b32_e32 v7, 0
	s_waitcnt lgkmcnt(0)
	v_cmp_gt_i64_e32 vcc, s[18:19], v[6:7]
	s_and_b64 exec, exec, vcc
	s_cbranch_execz .LBB32_30
; %bb.12:
	s_load_dwordx8 s[8:15], s[4:5], 0x20
	s_lshl_b64 s[0:1], s[6:7], 3
	v_and_b32_e32 v8, 0x7fffffff, v4
	v_cmp_eq_u32_e32 vcc, 0, v8
	v_and_b32_e32 v0, 31, v0
	s_waitcnt lgkmcnt(0)
	s_add_u32 s2, s8, s0
	s_addc_u32 s3, s9, s1
	s_load_dwordx2 s[34:35], s[2:3], 0x0
	s_load_dwordx2 s[28:29], s[4:5], 0x58
	;; [unrolled: 1-line block ×3, first 2 shown]
	v_lshlrev_b32_e32 v12, 3, v0
	s_load_dword s4, s[4:5], 0x0
	s_waitcnt lgkmcnt(0)
	s_sub_u32 s22, s34, s16
	s_subb_u32 s23, s35, 0
	s_add_u32 s2, s2, 8
	s_addc_u32 s3, s3, 0
	s_add_u32 s0, s10, s0
	s_addc_u32 s1, s11, s1
	s_cmp_eq_u64 s[10:11], 0
	s_cselect_b32 s1, s3, s1
	s_cselect_b32 s0, s2, s0
	s_load_dwordx2 s[24:25], s[0:1], 0x0
	v_mov_b32_e32 v13, s31
	v_mov_b32_e32 v14, s22
	;; [unrolled: 1-line block ×3, first 2 shown]
	s_mov_b64 s[8:9], 0
	s_waitcnt lgkmcnt(0)
	s_sub_u32 s10, s24, s16
	s_subb_u32 s11, s25, 0
	s_cmp_lg_u32 s4, 0
	v_cmp_eq_f32_e64 s[4:5], 0, v5
	v_pk_mov_b32 v[16:17], s[24:25], s[24:25] op_sel:[0,1]
	s_cselect_b64 s[24:25], -1, 0
	s_and_b64 s[26:27], vcc, s[4:5]
	s_mul_i32 s4, s6, s19
	s_mul_hi_u32 s5, s6, s18
	s_add_i32 s4, s5, s4
	s_mul_i32 s5, s7, s18
	s_add_i32 s5, s4, s5
	s_mul_i32 s4, s6, s18
	s_lshl_b64 s[4:5], s[4:5], 3
	s_add_u32 s17, s28, s4
	s_addc_u32 s33, s29, s5
	v_add_co_u32_e32 v12, vcc, s30, v12
	s_mul_i32 s4, s19, s22
	s_mul_i32 s5, s18, s23
	v_addc_co_u32_e32 v13, vcc, 0, v13, vcc
	s_add_i32 s6, s5, s4
	v_mad_u64_u32 v[14:15], s[4:5], s18, v14, v[6:7]
	v_add_co_u32_e32 v12, vcc, 4, v12
	v_add_u32_e32 v15, s6, v15
	v_addc_co_u32_e32 v13, vcc, 0, v13, vcc
	v_mul_lo_u32 v18, s18, v15
	v_mul_lo_u32 v19, s19, v14
	v_mad_u64_u32 v[14:15], s[4:5], s18, v14, 0
	s_mul_i32 s4, s18, s19
	s_mul_hi_u32 s5, s18, s18
	v_cmp_lt_i64_e32 vcc, s[34:35], v[16:17]
	s_add_i32 s5, s5, s4
	v_cndmask_b32_e64 v16, 0, 1, vcc
	s_mov_b32 s20, 0
	v_cmp_gt_u64_e64 s[0:1], s[18:19], v[0:1]
	v_cmp_eq_u32_e64 s[2:3], 31, v0
	v_xor_b32_e32 v8, 0x80000000, v3
	v_xor_b32_e32 v10, 0x80000000, v5
	v_mov_b32_e32 v9, v2
	v_mov_b32_e32 v11, v4
	s_lshl_b64 s[28:29], s[18:19], 3
	v_add3_u32 v15, v15, v18, v19
	s_lshl_b64 s[30:31], s[18:19], 5
	s_add_i32 s40, s5, s4
	s_mul_i32 s41, s18, s18
	v_cmp_ne_u32_e64 s[4:5], 1, v16
	s_branch .LBB32_14
.LBB32_13:                              ;   in Loop: Header=BB32_14 Depth=1
	s_or_b64 exec, exec, s[6:7]
	v_add_co_u32_e32 v6, vcc, 32, v6
	v_addc_co_u32_e32 v7, vcc, 0, v7, vcc
	v_cmp_le_i64_e32 vcc, s[18:19], v[6:7]
	v_mov_b32_e32 v16, s31
	s_or_b64 s[8:9], vcc, s[8:9]
	v_add_co_u32_e32 v14, vcc, s30, v14
	v_addc_co_u32_e32 v15, vcc, v15, v16, vcc
	s_andn2_b64 exec, exec, s[8:9]
	s_cbranch_execz .LBB32_30
.LBB32_14:                              ; =>This Loop Header: Depth=1
                                        ;     Child Loop BB32_18 Depth 2
                                        ;       Child Loop BB32_21 Depth 3
	s_mov_b32 s21, s20
	s_and_b64 vcc, exec, s[4:5]
	v_pk_mov_b32 v[16:17], s[20:21], s[20:21] op_sel:[0,1]
	s_cbranch_vccnz .LBB32_25
; %bb.15:                               ;   in Loop: Header=BB32_14 Depth=1
	v_pk_mov_b32 v[16:17], s[20:21], s[20:21] op_sel:[0,1]
	v_pk_mov_b32 v[18:19], v[14:15], v[14:15] op_sel:[0,1]
	s_mov_b64 s[34:35], s[22:23]
	s_branch .LBB32_18
.LBB32_16:                              ;   in Loop: Header=BB32_18 Depth=2
	s_or_b64 exec, exec, s[38:39]
.LBB32_17:                              ;   in Loop: Header=BB32_18 Depth=2
	s_or_b64 exec, exec, s[36:37]
	s_add_u32 s34, s34, 1
	v_mov_b32_e32 v20, s40
	v_add_co_u32_e32 v18, vcc, s41, v18
	s_addc_u32 s35, s35, 0
	v_addc_co_u32_e32 v19, vcc, v19, v20, vcc
	v_pk_mov_b32 v[20:21], s[10:11], s[10:11] op_sel:[0,1]
	v_cmp_ge_i64_e32 vcc, s[34:35], v[20:21]
	s_cbranch_vccnz .LBB32_25
.LBB32_18:                              ;   Parent Loop BB32_14 Depth=1
                                        ; =>  This Loop Header: Depth=2
                                        ;       Child Loop BB32_21 Depth 3
	s_and_saveexec_b64 s[36:37], s[0:1]
	s_cbranch_execz .LBB32_17
; %bb.19:                               ;   in Loop: Header=BB32_18 Depth=2
	s_lshl_b64 s[6:7], s[34:35], 3
	s_add_u32 s6, s12, s6
	s_addc_u32 s7, s13, s7
	s_load_dwordx2 s[6:7], s[6:7], 0x0
	s_mul_i32 s21, s34, s19
	s_mul_hi_u32 s38, s34, s18
	s_mul_i32 s39, s35, s18
	s_mul_i32 s42, s34, s18
	s_waitcnt lgkmcnt(0)
	s_sub_u32 s6, s6, s16
	s_subb_u32 s7, s7, 0
	s_add_i32 s21, s38, s21
	s_mul_i32 s38, s29, s6
	s_mul_i32 s7, s28, s7
	v_mov_b32_e32 v20, s6
	s_add_i32 s38, s7, s38
	v_mad_u64_u32 v[20:21], s[6:7], s28, v20, v[12:13]
	s_add_i32 s21, s21, s39
	v_add_u32_e32 v21, s38, v21
	s_mov_b64 s[38:39], 0
	v_pk_mov_b32 v[22:23], v[0:1], v[0:1] op_sel:[0,1]
	s_branch .LBB32_21
.LBB32_20:                              ;   in Loop: Header=BB32_21 Depth=3
	v_lshlrev_b64 v[24:25], 3, v[24:25]
	v_mov_b32_e32 v26, s15
	v_add_co_u32_e32 v24, vcc, s14, v24
	v_addc_co_u32_e32 v25, vcc, v26, v25, vcc
	global_load_dwordx2 v[26:27], v[20:21], off offset:-4
	global_load_dwordx2 v[28:29], v[24:25], off
	v_add_co_u32_e32 v22, vcc, 32, v22
	v_addc_co_u32_e32 v23, vcc, 0, v23, vcc
	v_add_co_u32_e32 v20, vcc, 0x100, v20
	v_cmp_le_i64_e64 s[6:7], s[18:19], v[22:23]
	s_or_b64 s[38:39], s[6:7], s[38:39]
	v_addc_co_u32_e32 v21, vcc, 0, v21, vcc
	s_waitcnt vmcnt(0)
	v_pk_fma_f32 v[16:17], v[28:29], v[26:27], v[16:17] op_sel_hi:[1,0,1]
	v_pk_fma_f32 v[16:17], v[28:29], v[26:27], v[16:17] op_sel:[1,1,0] op_sel_hi:[0,1,1] neg_lo:[1,0,0]
	s_andn2_b64 exec, exec, s[38:39]
	s_cbranch_execz .LBB32_16
.LBB32_21:                              ;   Parent Loop BB32_14 Depth=1
                                        ;     Parent Loop BB32_18 Depth=2
                                        ; =>    This Inner Loop Header: Depth=3
	s_and_b64 vcc, exec, s[24:25]
	s_cbranch_vccz .LBB32_23
; %bb.22:                               ;   in Loop: Header=BB32_21 Depth=3
	v_mov_b32_e32 v24, s21
	v_add_co_u32_e32 v25, vcc, s42, v22
	v_addc_co_u32_e32 v24, vcc, v23, v24, vcc
	v_mul_lo_u32 v26, v25, s19
	v_mul_lo_u32 v27, v24, s18
	v_mad_u64_u32 v[24:25], s[6:7], v25, s18, v[6:7]
	v_add3_u32 v25, v27, v25, v26
	s_cbranch_execnz .LBB32_20
	s_branch .LBB32_24
.LBB32_23:                              ;   in Loop: Header=BB32_21 Depth=3
                                        ; implicit-def: $vgpr24_vgpr25
.LBB32_24:                              ;   in Loop: Header=BB32_21 Depth=3
	v_add_co_u32_e32 v24, vcc, v18, v22
	v_addc_co_u32_e32 v25, vcc, v19, v23, vcc
	s_branch .LBB32_20
.LBB32_25:                              ;   in Loop: Header=BB32_14 Depth=1
	s_nop 0
	v_mov_b32_dpp v18, v16 row_shr:1 row_mask:0xf bank_mask:0xf
	v_mov_b32_dpp v19, v17 row_shr:1 row_mask:0xf bank_mask:0xf
	v_add_f32_e32 v16, v16, v18
	v_add_f32_e32 v17, v17, v19
	s_nop 0
	v_mov_b32_dpp v18, v16 row_shr:2 row_mask:0xf bank_mask:0xf
	v_mov_b32_dpp v19, v17 row_shr:2 row_mask:0xf bank_mask:0xf
	v_add_f32_e32 v16, v16, v18
	v_add_f32_e32 v17, v17, v19
	;; [unrolled: 5-line block ×4, first 2 shown]
	s_nop 0
	v_mov_b32_dpp v18, v16 row_bcast:15 row_mask:0xa bank_mask:0xf
	v_mov_b32_dpp v19, v17 row_bcast:15 row_mask:0xa bank_mask:0xf
	s_and_saveexec_b64 s[6:7], s[2:3]
	s_cbranch_execz .LBB32_13
; %bb.26:                               ;   in Loop: Header=BB32_14 Depth=1
	v_add_f32_e32 v16, v16, v18
	v_add_f32_e32 v18, v17, v19
	v_lshlrev_b64 v[20:21], 3, v[6:7]
	s_and_saveexec_b64 s[34:35], s[26:27]
	s_xor_b64 s[34:35], exec, s[34:35]
	s_cbranch_execz .LBB32_28
; %bb.27:                               ;   in Loop: Header=BB32_14 Depth=1
	v_mov_b32_e32 v17, s33
	v_add_co_u32_e32 v20, vcc, s17, v20
	v_pk_mul_f32 v[18:19], v[18:19], v[8:9] op_sel_hi:[0,1]
	v_addc_co_u32_e32 v21, vcc, v17, v21, vcc
	v_pk_fma_f32 v[16:17], v[2:3], v[16:17], v[18:19] op_sel_hi:[1,0,1]
	global_store_dwordx2 v[20:21], v[16:17], off
                                        ; implicit-def: $vgpr20_vgpr21
                                        ; implicit-def: $vgpr18
                                        ; implicit-def: $vgpr16
.LBB32_28:                              ;   in Loop: Header=BB32_14 Depth=1
	s_andn2_saveexec_b64 s[34:35], s[34:35]
	s_cbranch_execz .LBB32_13
; %bb.29:                               ;   in Loop: Header=BB32_14 Depth=1
	v_mov_b32_e32 v17, s33
	v_add_co_u32_e32 v20, vcc, s17, v20
	v_addc_co_u32_e32 v21, vcc, v17, v21, vcc
	global_load_dwordx2 v[22:23], v[20:21], off
	v_pk_mul_f32 v[18:19], v[18:19], v[8:9] op_sel_hi:[0,1]
	v_pk_fma_f32 v[16:17], v[2:3], v[16:17], v[18:19] op_sel_hi:[1,0,1]
	s_waitcnt vmcnt(0)
	v_pk_fma_f32 v[16:17], v[4:5], v[22:23], v[16:17] op_sel_hi:[1,0,1]
	v_pk_fma_f32 v[16:17], v[10:11], v[22:23], v[16:17] op_sel:[0,1,0]
	global_store_dwordx2 v[20:21], v[16:17], off
	s_branch .LBB32_13
.LBB32_30:
	s_endpgm
.LBB32_31:
	v_pk_mov_b32 v[4:5], s[8:9], s[8:9] op_sel:[0,1]
	flat_load_dword v3, v[4:5] offset:4
	s_and_b64 vcc, exec, s[0:1]
	v_mov_b32_e32 v4, s2
	s_cbranch_vccnz .LBB32_4
.LBB32_32:
	v_pk_mov_b32 v[4:5], s[2:3], s[2:3] op_sel:[0,1]
	flat_load_dword v4, v[4:5]
	s_and_b64 vcc, exec, s[0:1]
	v_mov_b32_e32 v5, s3
	s_cbranch_vccz .LBB32_5
	s_branch .LBB32_6
	.section	.rodata,"a",@progbits
	.p2align	6, 0x0
	.amdhsa_kernel _ZN9rocsparseL22bsrxmvn_general_kernelILj1024ELj32E21rocsparse_complex_numIfEllS2_S2_S2_EEv20rocsparse_direction_NS_24const_host_device_scalarIT1_EET3_PKS7_PKT2_SC_S9_PKT4_S7_PKT5_S6_PT6_21rocsparse_index_base_b
		.amdhsa_group_segment_fixed_size 0
		.amdhsa_private_segment_fixed_size 0
		.amdhsa_kernarg_size 104
		.amdhsa_user_sgpr_count 6
		.amdhsa_user_sgpr_private_segment_buffer 1
		.amdhsa_user_sgpr_dispatch_ptr 0
		.amdhsa_user_sgpr_queue_ptr 0
		.amdhsa_user_sgpr_kernarg_segment_ptr 1
		.amdhsa_user_sgpr_dispatch_id 0
		.amdhsa_user_sgpr_flat_scratch_init 0
		.amdhsa_user_sgpr_kernarg_preload_length 0
		.amdhsa_user_sgpr_kernarg_preload_offset 0
		.amdhsa_user_sgpr_private_segment_size 0
		.amdhsa_uses_dynamic_stack 0
		.amdhsa_system_sgpr_private_segment_wavefront_offset 0
		.amdhsa_system_sgpr_workgroup_id_x 1
		.amdhsa_system_sgpr_workgroup_id_y 0
		.amdhsa_system_sgpr_workgroup_id_z 0
		.amdhsa_system_sgpr_workgroup_info 0
		.amdhsa_system_vgpr_workitem_id 0
		.amdhsa_next_free_vgpr 30
		.amdhsa_next_free_sgpr 43
		.amdhsa_accum_offset 32
		.amdhsa_reserve_vcc 1
		.amdhsa_reserve_flat_scratch 0
		.amdhsa_float_round_mode_32 0
		.amdhsa_float_round_mode_16_64 0
		.amdhsa_float_denorm_mode_32 3
		.amdhsa_float_denorm_mode_16_64 3
		.amdhsa_dx10_clamp 1
		.amdhsa_ieee_mode 1
		.amdhsa_fp16_overflow 0
		.amdhsa_tg_split 0
		.amdhsa_exception_fp_ieee_invalid_op 0
		.amdhsa_exception_fp_denorm_src 0
		.amdhsa_exception_fp_ieee_div_zero 0
		.amdhsa_exception_fp_ieee_overflow 0
		.amdhsa_exception_fp_ieee_underflow 0
		.amdhsa_exception_fp_ieee_inexact 0
		.amdhsa_exception_int_div_zero 0
	.end_amdhsa_kernel
	.section	.text._ZN9rocsparseL22bsrxmvn_general_kernelILj1024ELj32E21rocsparse_complex_numIfEllS2_S2_S2_EEv20rocsparse_direction_NS_24const_host_device_scalarIT1_EET3_PKS7_PKT2_SC_S9_PKT4_S7_PKT5_S6_PT6_21rocsparse_index_base_b,"axG",@progbits,_ZN9rocsparseL22bsrxmvn_general_kernelILj1024ELj32E21rocsparse_complex_numIfEllS2_S2_S2_EEv20rocsparse_direction_NS_24const_host_device_scalarIT1_EET3_PKS7_PKT2_SC_S9_PKT4_S7_PKT5_S6_PT6_21rocsparse_index_base_b,comdat
.Lfunc_end32:
	.size	_ZN9rocsparseL22bsrxmvn_general_kernelILj1024ELj32E21rocsparse_complex_numIfEllS2_S2_S2_EEv20rocsparse_direction_NS_24const_host_device_scalarIT1_EET3_PKS7_PKT2_SC_S9_PKT4_S7_PKT5_S6_PT6_21rocsparse_index_base_b, .Lfunc_end32-_ZN9rocsparseL22bsrxmvn_general_kernelILj1024ELj32E21rocsparse_complex_numIfEllS2_S2_S2_EEv20rocsparse_direction_NS_24const_host_device_scalarIT1_EET3_PKS7_PKT2_SC_S9_PKT4_S7_PKT5_S6_PT6_21rocsparse_index_base_b
                                        ; -- End function
	.section	.AMDGPU.csdata,"",@progbits
; Kernel info:
; codeLenInByte = 1432
; NumSgprs: 47
; NumVgprs: 30
; NumAgprs: 0
; TotalNumVgprs: 30
; ScratchSize: 0
; MemoryBound: 0
; FloatMode: 240
; IeeeMode: 1
; LDSByteSize: 0 bytes/workgroup (compile time only)
; SGPRBlocks: 5
; VGPRBlocks: 3
; NumSGPRsForWavesPerEU: 47
; NumVGPRsForWavesPerEU: 30
; AccumOffset: 32
; Occupancy: 8
; WaveLimiterHint : 1
; COMPUTE_PGM_RSRC2:SCRATCH_EN: 0
; COMPUTE_PGM_RSRC2:USER_SGPR: 6
; COMPUTE_PGM_RSRC2:TRAP_HANDLER: 0
; COMPUTE_PGM_RSRC2:TGID_X_EN: 1
; COMPUTE_PGM_RSRC2:TGID_Y_EN: 0
; COMPUTE_PGM_RSRC2:TGID_Z_EN: 0
; COMPUTE_PGM_RSRC2:TIDIG_COMP_CNT: 0
; COMPUTE_PGM_RSRC3_GFX90A:ACCUM_OFFSET: 7
; COMPUTE_PGM_RSRC3_GFX90A:TG_SPLIT: 0
	.section	.text._ZN9rocsparseL22bsrxmvn_general_kernelILj64ELj8E21rocsparse_complex_numIdEllS2_S2_S2_EEv20rocsparse_direction_NS_24const_host_device_scalarIT1_EET3_PKS7_PKT2_SC_S9_PKT4_S7_PKT5_S6_PT6_21rocsparse_index_base_b,"axG",@progbits,_ZN9rocsparseL22bsrxmvn_general_kernelILj64ELj8E21rocsparse_complex_numIdEllS2_S2_S2_EEv20rocsparse_direction_NS_24const_host_device_scalarIT1_EET3_PKS7_PKT2_SC_S9_PKT4_S7_PKT5_S6_PT6_21rocsparse_index_base_b,comdat
	.globl	_ZN9rocsparseL22bsrxmvn_general_kernelILj64ELj8E21rocsparse_complex_numIdEllS2_S2_S2_EEv20rocsparse_direction_NS_24const_host_device_scalarIT1_EET3_PKS7_PKT2_SC_S9_PKT4_S7_PKT5_S6_PT6_21rocsparse_index_base_b ; -- Begin function _ZN9rocsparseL22bsrxmvn_general_kernelILj64ELj8E21rocsparse_complex_numIdEllS2_S2_S2_EEv20rocsparse_direction_NS_24const_host_device_scalarIT1_EET3_PKS7_PKT2_SC_S9_PKT4_S7_PKT5_S6_PT6_21rocsparse_index_base_b
	.p2align	8
	.type	_ZN9rocsparseL22bsrxmvn_general_kernelILj64ELj8E21rocsparse_complex_numIdEllS2_S2_S2_EEv20rocsparse_direction_NS_24const_host_device_scalarIT1_EET3_PKS7_PKT2_SC_S9_PKT4_S7_PKT5_S6_PT6_21rocsparse_index_base_b,@function
_ZN9rocsparseL22bsrxmvn_general_kernelILj64ELj8E21rocsparse_complex_numIdEllS2_S2_S2_EEv20rocsparse_direction_NS_24const_host_device_scalarIT1_EET3_PKS7_PKT2_SC_S9_PKT4_S7_PKT5_S6_PT6_21rocsparse_index_base_b: ; @_ZN9rocsparseL22bsrxmvn_general_kernelILj64ELj8E21rocsparse_complex_numIdEllS2_S2_S2_EEv20rocsparse_direction_NS_24const_host_device_scalarIT1_EET3_PKS7_PKT2_SC_S9_PKT4_S7_PKT5_S6_PT6_21rocsparse_index_base_b
; %bb.0:
	s_load_dwordx2 s[10:11], s[6:7], 0x70
	s_load_dwordx4 s[12:15], s[6:7], 0x8
	s_load_dwordx2 s[20:21], s[4:5], 0x4
	s_load_dwordx4 s[16:19], s[6:7], 0x58
	s_mov_b64 s[2:3], src_shared_base
	v_bfe_u32 v2, v0, 10, 10
	s_waitcnt lgkmcnt(0)
	s_bitcmp1_b32 s11, 0
	s_cselect_b64 s[0:1], -1, 0
	s_and_b64 vcc, s[0:1], exec
	s_cselect_b32 s2, s3, s13
	s_lshr_b32 s4, s20, 16
	v_and_b32_e32 v1, 0x3ff, v0
	s_mul_i32 s4, s4, s21
	v_mul_u32_u24_e32 v2, s21, v2
	v_mad_u32_u24 v2, s4, v1, v2
	v_bfe_u32 v0, v0, 20, 10
	v_add_lshl_u32 v0, v2, v0, 3
	v_mov_b32_e32 v6, s12
	v_add_u32_e32 v7, 0x200, v0
	v_pk_mov_b32 v[2:3], s[12:13], s[12:13] op_sel:[0,1]
	v_pk_mov_b32 v[4:5], s[16:17], s[16:17] op_sel:[0,1]
	ds_write2st64_b64 v0, v[4:5], v[2:3] offset1:1
	v_cndmask_b32_e64 v2, v6, v7, s[0:1]
	v_mov_b32_e32 v3, s2
	flat_load_dwordx2 v[4:5], v[2:3]
	s_xor_b64 s[4:5], s[0:1], -1
	v_pk_mov_b32 v[6:7], s[14:15], s[14:15] op_sel:[0,1]
	s_cbranch_vccnz .LBB33_2
; %bb.1:
	v_pk_mov_b32 v[2:3], s[12:13], s[12:13] op_sel:[0,1]
	flat_load_dwordx2 v[6:7], v[2:3] offset:8
.LBB33_2:
	s_and_b64 s[12:13], s[0:1], exec
	s_cselect_b32 s2, s3, s17
	v_mov_b32_e32 v2, s16
	v_cndmask_b32_e64 v2, v2, v0, s[0:1]
	v_mov_b32_e32 v3, s2
	flat_load_dwordx2 v[8:9], v[2:3]
	s_andn2_b64 vcc, exec, s[4:5]
	v_pk_mov_b32 v[10:11], s[18:19], s[18:19] op_sel:[0,1]
	s_cbranch_vccnz .LBB33_4
; %bb.3:
	v_pk_mov_b32 v[2:3], s[16:17], s[16:17] op_sel:[0,1]
	flat_load_dwordx2 v[10:11], v[2:3] offset:8
.LBB33_4:
	s_waitcnt vmcnt(0) lgkmcnt(0)
	v_cmp_eq_f64_e32 vcc, 0, v[4:5]
	v_cmp_eq_f64_e64 s[0:1], 0, v[6:7]
	s_and_b64 s[4:5], vcc, s[0:1]
	s_mov_b64 s[0:1], -1
	s_and_saveexec_b64 s[2:3], s[4:5]
; %bb.5:
	v_cmp_neq_f64_e32 vcc, 1.0, v[8:9]
	v_cmp_neq_f64_e64 s[0:1], 0, v[10:11]
	s_or_b64 s[0:1], vcc, s[0:1]
	s_orn2_b64 s[0:1], s[0:1], exec
; %bb.6:
	s_or_b64 exec, exec, s[2:3]
	s_and_saveexec_b64 s[2:3], s[0:1]
	s_cbranch_execz .LBB33_28
; %bb.7:
	s_load_dwordx2 s[0:1], s[6:7], 0x20
	s_mov_b32 s9, 0
	s_waitcnt lgkmcnt(0)
	s_cmp_eq_u64 s[0:1], 0
	s_cbranch_scc1 .LBB33_9
; %bb.8:
	s_lshl_b64 s[2:3], s[8:9], 3
	s_add_u32 s0, s0, s2
	s_addc_u32 s1, s1, s3
	s_load_dwordx2 s[0:1], s[0:1], 0x0
	s_waitcnt lgkmcnt(0)
	s_sub_u32 s8, s0, s10
	s_subb_u32 s9, s1, 0
.LBB33_9:
	s_load_dwordx2 s[20:21], s[6:7], 0x48
	v_lshrrev_b32_e32 v12, 3, v1
	v_mov_b32_e32 v13, 0
	s_waitcnt lgkmcnt(0)
	v_cmp_gt_i64_e32 vcc, s[20:21], v[12:13]
	s_and_b64 exec, exec, vcc
	s_cbranch_execz .LBB33_28
; %bb.10:
	s_load_dwordx8 s[12:19], s[6:7], 0x28
	s_lshl_b64 s[0:1], s[8:9], 3
	v_and_b32_e32 v14, 7, v1
	v_cmp_eq_f64_e32 vcc, 0, v[8:9]
	v_lshlrev_b32_e32 v2, 4, v14
	s_waitcnt lgkmcnt(0)
	s_add_u32 s2, s12, s0
	s_addc_u32 s3, s13, s1
	s_load_dwordx2 s[30:31], s[2:3], 0x0
	s_load_dwordx2 s[28:29], s[6:7], 0x68
	;; [unrolled: 1-line block ×3, first 2 shown]
	v_mov_b32_e32 v15, v13
	s_mov_b64 s[12:13], 0
	s_waitcnt lgkmcnt(0)
	s_sub_u32 s22, s30, s10
	s_subb_u32 s23, s31, 0
	s_add_u32 s2, s2, 8
	s_addc_u32 s3, s3, 0
	s_add_u32 s0, s14, s0
	s_addc_u32 s1, s15, s1
	s_cmp_eq_u64 s[14:15], 0
	s_cselect_b32 s1, s3, s1
	s_cselect_b32 s0, s2, s0
	s_load_dwordx2 s[4:5], s[0:1], 0x0
	s_load_dword s11, s[6:7], 0x0
	v_mov_b32_e32 v3, s35
	v_cmp_gt_u64_e64 s[0:1], s[20:21], v[14:15]
	v_cmp_eq_u32_e64 s[2:3], 7, v14
	s_waitcnt lgkmcnt(0)
	s_sub_u32 s14, s4, s10
	s_subb_u32 s15, s5, 0
	v_pk_mov_b32 v[0:1], s[4:5], s[4:5] op_sel:[0,1]
	s_cmp_lg_u32 s11, 0
	v_cmp_eq_f64_e64 s[4:5], 0, v[10:11]
	s_cselect_b64 s[24:25], -1, 0
	s_and_b64 s[26:27], vcc, s[4:5]
	s_mul_i32 s4, s8, s21
	s_mul_hi_u32 s5, s8, s20
	s_add_i32 s4, s5, s4
	s_mul_i32 s5, s9, s20
	s_add_i32 s5, s4, s5
	s_mul_i32 s4, s8, s20
	s_lshl_b64 s[4:5], s[4:5], 4
	v_add_co_u32_e32 v2, vcc, s34, v2
	s_add_u32 s11, s28, s4
	v_addc_co_u32_e32 v3, vcc, 0, v3, vcc
	s_addc_u32 s33, s29, s5
	v_add_co_u32_e32 v16, vcc, 8, v2
	s_mul_i32 s4, s21, s22
	s_mul_i32 s5, s20, s23
	v_mov_b32_e32 v2, s22
	v_addc_co_u32_e32 v17, vcc, 0, v3, vcc
	s_add_i32 s6, s5, s4
	v_mad_u64_u32 v[2:3], s[4:5], s20, v2, v[12:13]
	v_mad_u64_u32 v[18:19], s[4:5], s20, v2, 0
	v_add_u32_e32 v3, s6, v3
	s_mul_i32 s4, s20, s21
	s_mul_hi_u32 s5, s20, s20
	v_cmp_lt_i64_e32 vcc, s[30:31], v[0:1]
	v_mul_lo_u32 v3, s20, v3
	v_mul_lo_u32 v20, s21, v2
	s_add_i32 s5, s5, s4
	v_cndmask_b32_e64 v0, 0, 1, vcc
	s_lshl_b64 s[8:9], s[20:21], 4
	v_add3_u32 v19, v19, v3, v20
	s_lshl_b64 s[28:29], s[20:21], 3
	s_add_i32 s38, s5, s4
	s_mul_i32 s39, s20, s20
	v_cmp_ne_u32_e64 s[4:5], 1, v0
	s_branch .LBB33_12
.LBB33_11:                              ;   in Loop: Header=BB33_12 Depth=1
	s_or_b64 exec, exec, s[6:7]
	v_add_co_u32_e32 v12, vcc, 8, v12
	v_addc_co_u32_e32 v13, vcc, 0, v13, vcc
	v_cmp_le_i64_e32 vcc, s[20:21], v[12:13]
	v_mov_b32_e32 v0, s29
	s_or_b64 s[12:13], vcc, s[12:13]
	v_add_co_u32_e32 v18, vcc, s28, v18
	v_addc_co_u32_e32 v19, vcc, v19, v0, vcc
	s_andn2_b64 exec, exec, s[12:13]
	s_cbranch_execz .LBB33_28
.LBB33_12:                              ; =>This Loop Header: Depth=1
                                        ;     Child Loop BB33_16 Depth 2
                                        ;       Child Loop BB33_19 Depth 3
	v_pk_mov_b32 v[0:1], 0, 0
	s_and_b64 vcc, exec, s[4:5]
	v_pk_mov_b32 v[2:3], v[0:1], v[0:1] op_sel:[0,1]
	s_cbranch_vccnz .LBB33_23
; %bb.13:                               ;   in Loop: Header=BB33_12 Depth=1
	v_pk_mov_b32 v[0:1], 0, 0
	v_pk_mov_b32 v[20:21], v[18:19], v[18:19] op_sel:[0,1]
	s_mov_b64 s[30:31], s[22:23]
	v_pk_mov_b32 v[2:3], v[0:1], v[0:1] op_sel:[0,1]
	s_branch .LBB33_16
.LBB33_14:                              ;   in Loop: Header=BB33_16 Depth=2
	s_or_b64 exec, exec, s[36:37]
.LBB33_15:                              ;   in Loop: Header=BB33_16 Depth=2
	s_or_b64 exec, exec, s[34:35]
	s_add_u32 s30, s30, 1
	v_mov_b32_e32 v22, s38
	v_add_co_u32_e32 v20, vcc, s39, v20
	s_addc_u32 s31, s31, 0
	v_addc_co_u32_e32 v21, vcc, v21, v22, vcc
	v_pk_mov_b32 v[22:23], s[14:15], s[14:15] op_sel:[0,1]
	v_cmp_ge_i64_e32 vcc, s[30:31], v[22:23]
	s_cbranch_vccnz .LBB33_23
.LBB33_16:                              ;   Parent Loop BB33_12 Depth=1
                                        ; =>  This Loop Header: Depth=2
                                        ;       Child Loop BB33_19 Depth 3
	s_and_saveexec_b64 s[34:35], s[0:1]
	s_cbranch_execz .LBB33_15
; %bb.17:                               ;   in Loop: Header=BB33_16 Depth=2
	s_lshl_b64 s[6:7], s[30:31], 3
	s_add_u32 s6, s16, s6
	s_addc_u32 s7, s17, s7
	s_load_dwordx2 s[6:7], s[6:7], 0x0
	s_mul_i32 s36, s30, s21
	s_mul_hi_u32 s37, s30, s20
	s_mul_i32 s40, s31, s20
	s_mul_i32 s41, s30, s20
	s_waitcnt lgkmcnt(0)
	s_sub_u32 s6, s6, s10
	s_subb_u32 s7, s7, 0
	s_add_i32 s36, s37, s36
	s_add_i32 s40, s36, s40
	s_mul_i32 s36, s9, s6
	s_mul_i32 s7, s8, s7
	v_mov_b32_e32 v22, s6
	s_add_i32 s36, s7, s36
	v_mad_u64_u32 v[22:23], s[6:7], s8, v22, v[16:17]
	v_add_u32_e32 v23, s36, v23
	s_mov_b64 s[36:37], 0
	v_pk_mov_b32 v[24:25], v[14:15], v[14:15] op_sel:[0,1]
	s_branch .LBB33_19
.LBB33_18:                              ;   in Loop: Header=BB33_19 Depth=3
	v_lshlrev_b64 v[26:27], 4, v[26:27]
	v_mov_b32_e32 v28, s19
	v_add_co_u32_e32 v34, vcc, s18, v26
	v_addc_co_u32_e32 v35, vcc, v28, v27, vcc
	global_load_dwordx4 v[26:29], v[22:23], off offset:-8
	global_load_dwordx4 v[30:33], v[34:35], off
	v_add_co_u32_e32 v24, vcc, 8, v24
	v_addc_co_u32_e32 v25, vcc, 0, v25, vcc
	v_add_co_u32_e32 v22, vcc, 0x80, v22
	v_cmp_le_i64_e64 s[6:7], s[20:21], v[24:25]
	s_or_b64 s[36:37], s[6:7], s[36:37]
	v_addc_co_u32_e32 v23, vcc, 0, v23, vcc
	s_waitcnt vmcnt(0)
	v_fmac_f64_e32 v[2:3], v[30:31], v[26:27]
	v_fmac_f64_e32 v[0:1], v[32:33], v[26:27]
	v_fma_f64 v[2:3], -v[32:33], v[28:29], v[2:3]
	v_fmac_f64_e32 v[0:1], v[30:31], v[28:29]
	s_andn2_b64 exec, exec, s[36:37]
	s_cbranch_execz .LBB33_14
.LBB33_19:                              ;   Parent Loop BB33_12 Depth=1
                                        ;     Parent Loop BB33_16 Depth=2
                                        ; =>    This Inner Loop Header: Depth=3
	s_and_b64 vcc, exec, s[24:25]
	s_cbranch_vccz .LBB33_21
; %bb.20:                               ;   in Loop: Header=BB33_19 Depth=3
	v_mov_b32_e32 v26, s40
	v_add_co_u32_e32 v27, vcc, s41, v24
	v_addc_co_u32_e32 v26, vcc, v25, v26, vcc
	v_mul_lo_u32 v28, v27, s21
	v_mul_lo_u32 v29, v26, s20
	v_mad_u64_u32 v[26:27], s[6:7], v27, s20, v[12:13]
	v_add3_u32 v27, v29, v27, v28
	s_cbranch_execnz .LBB33_18
	s_branch .LBB33_22
.LBB33_21:                              ;   in Loop: Header=BB33_19 Depth=3
                                        ; implicit-def: $vgpr26_vgpr27
.LBB33_22:                              ;   in Loop: Header=BB33_19 Depth=3
	v_add_co_u32_e32 v26, vcc, v20, v24
	v_addc_co_u32_e32 v27, vcc, v21, v25, vcc
	s_branch .LBB33_18
.LBB33_23:                              ;   in Loop: Header=BB33_12 Depth=1
	s_nop 0
	v_mov_b32_dpp v20, v2 row_shr:1 row_mask:0xf bank_mask:0xf
	v_mov_b32_dpp v21, v3 row_shr:1 row_mask:0xf bank_mask:0xf
	;; [unrolled: 1-line block ×4, first 2 shown]
	v_add_f64 v[2:3], v[2:3], v[20:21]
	v_add_f64 v[0:1], v[0:1], v[22:23]
	s_nop 0
	v_mov_b32_dpp v20, v2 row_shr:2 row_mask:0xf bank_mask:0xf
	v_mov_b32_dpp v21, v3 row_shr:2 row_mask:0xf bank_mask:0xf
	;; [unrolled: 1-line block ×4, first 2 shown]
	v_add_f64 v[2:3], v[2:3], v[20:21]
	v_add_f64 v[0:1], v[0:1], v[22:23]
	s_nop 0
	v_mov_b32_dpp v20, v2 row_shr:4 row_mask:0xf bank_mask:0xe
	v_mov_b32_dpp v21, v3 row_shr:4 row_mask:0xf bank_mask:0xe
	;; [unrolled: 1-line block ×4, first 2 shown]
	s_and_saveexec_b64 s[6:7], s[2:3]
	s_cbranch_execz .LBB33_11
; %bb.24:                               ;   in Loop: Header=BB33_12 Depth=1
	v_add_f64 v[24:25], v[2:3], v[20:21]
	v_add_f64 v[2:3], v[0:1], v[22:23]
	v_mul_f64 v[0:1], v[2:3], -v[6:7]
	v_mul_f64 v[2:3], v[4:5], v[2:3]
	v_lshlrev_b64 v[20:21], 4, v[12:13]
	v_fmac_f64_e32 v[0:1], v[4:5], v[24:25]
	v_fmac_f64_e32 v[2:3], v[6:7], v[24:25]
	s_and_saveexec_b64 s[30:31], s[26:27]
	s_xor_b64 s[30:31], exec, s[30:31]
	s_cbranch_execz .LBB33_26
; %bb.25:                               ;   in Loop: Header=BB33_12 Depth=1
	v_mov_b32_e32 v22, s33
	v_add_co_u32_e32 v20, vcc, s11, v20
	v_addc_co_u32_e32 v21, vcc, v22, v21, vcc
	global_store_dwordx4 v[20:21], v[0:3], off
                                        ; implicit-def: $vgpr20_vgpr21
                                        ; implicit-def: $vgpr0_vgpr1
.LBB33_26:                              ;   in Loop: Header=BB33_12 Depth=1
	s_andn2_saveexec_b64 s[30:31], s[30:31]
	s_cbranch_execz .LBB33_11
; %bb.27:                               ;   in Loop: Header=BB33_12 Depth=1
	v_mov_b32_e32 v22, s33
	v_add_co_u32_e32 v24, vcc, s11, v20
	v_addc_co_u32_e32 v25, vcc, v22, v21, vcc
	global_load_dwordx4 v[20:23], v[24:25], off
	s_waitcnt vmcnt(0)
	v_fmac_f64_e32 v[0:1], v[8:9], v[20:21]
	v_fmac_f64_e32 v[2:3], v[10:11], v[20:21]
	v_fma_f64 v[0:1], -v[10:11], v[22:23], v[0:1]
	v_fmac_f64_e32 v[2:3], v[8:9], v[22:23]
	global_store_dwordx4 v[24:25], v[0:3], off
	s_branch .LBB33_11
.LBB33_28:
	s_endpgm
	.section	.rodata,"a",@progbits
	.p2align	6, 0x0
	.amdhsa_kernel _ZN9rocsparseL22bsrxmvn_general_kernelILj64ELj8E21rocsparse_complex_numIdEllS2_S2_S2_EEv20rocsparse_direction_NS_24const_host_device_scalarIT1_EET3_PKS7_PKT2_SC_S9_PKT4_S7_PKT5_S6_PT6_21rocsparse_index_base_b
		.amdhsa_group_segment_fixed_size 1024
		.amdhsa_private_segment_fixed_size 0
		.amdhsa_kernarg_size 120
		.amdhsa_user_sgpr_count 8
		.amdhsa_user_sgpr_private_segment_buffer 1
		.amdhsa_user_sgpr_dispatch_ptr 1
		.amdhsa_user_sgpr_queue_ptr 0
		.amdhsa_user_sgpr_kernarg_segment_ptr 1
		.amdhsa_user_sgpr_dispatch_id 0
		.amdhsa_user_sgpr_flat_scratch_init 0
		.amdhsa_user_sgpr_kernarg_preload_length 0
		.amdhsa_user_sgpr_kernarg_preload_offset 0
		.amdhsa_user_sgpr_private_segment_size 0
		.amdhsa_uses_dynamic_stack 0
		.amdhsa_system_sgpr_private_segment_wavefront_offset 0
		.amdhsa_system_sgpr_workgroup_id_x 1
		.amdhsa_system_sgpr_workgroup_id_y 0
		.amdhsa_system_sgpr_workgroup_id_z 0
		.amdhsa_system_sgpr_workgroup_info 0
		.amdhsa_system_vgpr_workitem_id 2
		.amdhsa_next_free_vgpr 36
		.amdhsa_next_free_sgpr 42
		.amdhsa_accum_offset 36
		.amdhsa_reserve_vcc 1
		.amdhsa_reserve_flat_scratch 0
		.amdhsa_float_round_mode_32 0
		.amdhsa_float_round_mode_16_64 0
		.amdhsa_float_denorm_mode_32 3
		.amdhsa_float_denorm_mode_16_64 3
		.amdhsa_dx10_clamp 1
		.amdhsa_ieee_mode 1
		.amdhsa_fp16_overflow 0
		.amdhsa_tg_split 0
		.amdhsa_exception_fp_ieee_invalid_op 0
		.amdhsa_exception_fp_denorm_src 0
		.amdhsa_exception_fp_ieee_div_zero 0
		.amdhsa_exception_fp_ieee_overflow 0
		.amdhsa_exception_fp_ieee_underflow 0
		.amdhsa_exception_fp_ieee_inexact 0
		.amdhsa_exception_int_div_zero 0
	.end_amdhsa_kernel
	.section	.text._ZN9rocsparseL22bsrxmvn_general_kernelILj64ELj8E21rocsparse_complex_numIdEllS2_S2_S2_EEv20rocsparse_direction_NS_24const_host_device_scalarIT1_EET3_PKS7_PKT2_SC_S9_PKT4_S7_PKT5_S6_PT6_21rocsparse_index_base_b,"axG",@progbits,_ZN9rocsparseL22bsrxmvn_general_kernelILj64ELj8E21rocsparse_complex_numIdEllS2_S2_S2_EEv20rocsparse_direction_NS_24const_host_device_scalarIT1_EET3_PKS7_PKT2_SC_S9_PKT4_S7_PKT5_S6_PT6_21rocsparse_index_base_b,comdat
.Lfunc_end33:
	.size	_ZN9rocsparseL22bsrxmvn_general_kernelILj64ELj8E21rocsparse_complex_numIdEllS2_S2_S2_EEv20rocsparse_direction_NS_24const_host_device_scalarIT1_EET3_PKS7_PKT2_SC_S9_PKT4_S7_PKT5_S6_PT6_21rocsparse_index_base_b, .Lfunc_end33-_ZN9rocsparseL22bsrxmvn_general_kernelILj64ELj8E21rocsparse_complex_numIdEllS2_S2_S2_EEv20rocsparse_direction_NS_24const_host_device_scalarIT1_EET3_PKS7_PKT2_SC_S9_PKT4_S7_PKT5_S6_PT6_21rocsparse_index_base_b
                                        ; -- End function
	.section	.AMDGPU.csdata,"",@progbits
; Kernel info:
; codeLenInByte = 1472
; NumSgprs: 46
; NumVgprs: 36
; NumAgprs: 0
; TotalNumVgprs: 36
; ScratchSize: 0
; MemoryBound: 0
; FloatMode: 240
; IeeeMode: 1
; LDSByteSize: 1024 bytes/workgroup (compile time only)
; SGPRBlocks: 5
; VGPRBlocks: 4
; NumSGPRsForWavesPerEU: 46
; NumVGPRsForWavesPerEU: 36
; AccumOffset: 36
; Occupancy: 8
; WaveLimiterHint : 1
; COMPUTE_PGM_RSRC2:SCRATCH_EN: 0
; COMPUTE_PGM_RSRC2:USER_SGPR: 8
; COMPUTE_PGM_RSRC2:TRAP_HANDLER: 0
; COMPUTE_PGM_RSRC2:TGID_X_EN: 1
; COMPUTE_PGM_RSRC2:TGID_Y_EN: 0
; COMPUTE_PGM_RSRC2:TGID_Z_EN: 0
; COMPUTE_PGM_RSRC2:TIDIG_COMP_CNT: 2
; COMPUTE_PGM_RSRC3_GFX90A:ACCUM_OFFSET: 8
; COMPUTE_PGM_RSRC3_GFX90A:TG_SPLIT: 0
	.section	.text._ZN9rocsparseL22bsrxmvn_general_kernelILj256ELj16E21rocsparse_complex_numIdEllS2_S2_S2_EEv20rocsparse_direction_NS_24const_host_device_scalarIT1_EET3_PKS7_PKT2_SC_S9_PKT4_S7_PKT5_S6_PT6_21rocsparse_index_base_b,"axG",@progbits,_ZN9rocsparseL22bsrxmvn_general_kernelILj256ELj16E21rocsparse_complex_numIdEllS2_S2_S2_EEv20rocsparse_direction_NS_24const_host_device_scalarIT1_EET3_PKS7_PKT2_SC_S9_PKT4_S7_PKT5_S6_PT6_21rocsparse_index_base_b,comdat
	.globl	_ZN9rocsparseL22bsrxmvn_general_kernelILj256ELj16E21rocsparse_complex_numIdEllS2_S2_S2_EEv20rocsparse_direction_NS_24const_host_device_scalarIT1_EET3_PKS7_PKT2_SC_S9_PKT4_S7_PKT5_S6_PT6_21rocsparse_index_base_b ; -- Begin function _ZN9rocsparseL22bsrxmvn_general_kernelILj256ELj16E21rocsparse_complex_numIdEllS2_S2_S2_EEv20rocsparse_direction_NS_24const_host_device_scalarIT1_EET3_PKS7_PKT2_SC_S9_PKT4_S7_PKT5_S6_PT6_21rocsparse_index_base_b
	.p2align	8
	.type	_ZN9rocsparseL22bsrxmvn_general_kernelILj256ELj16E21rocsparse_complex_numIdEllS2_S2_S2_EEv20rocsparse_direction_NS_24const_host_device_scalarIT1_EET3_PKS7_PKT2_SC_S9_PKT4_S7_PKT5_S6_PT6_21rocsparse_index_base_b,@function
_ZN9rocsparseL22bsrxmvn_general_kernelILj256ELj16E21rocsparse_complex_numIdEllS2_S2_S2_EEv20rocsparse_direction_NS_24const_host_device_scalarIT1_EET3_PKS7_PKT2_SC_S9_PKT4_S7_PKT5_S6_PT6_21rocsparse_index_base_b: ; @_ZN9rocsparseL22bsrxmvn_general_kernelILj256ELj16E21rocsparse_complex_numIdEllS2_S2_S2_EEv20rocsparse_direction_NS_24const_host_device_scalarIT1_EET3_PKS7_PKT2_SC_S9_PKT4_S7_PKT5_S6_PT6_21rocsparse_index_base_b
; %bb.0:
	s_load_dwordx2 s[10:11], s[6:7], 0x70
	s_load_dwordx4 s[12:15], s[6:7], 0x8
	s_load_dwordx2 s[20:21], s[4:5], 0x4
	s_load_dwordx4 s[16:19], s[6:7], 0x58
	s_mov_b64 s[2:3], src_shared_base
	v_and_b32_e32 v1, 0x3ff, v0
	s_waitcnt lgkmcnt(0)
	s_bitcmp1_b32 s11, 0
	s_cselect_b64 s[0:1], -1, 0
	s_and_b64 vcc, s[0:1], exec
	s_cselect_b32 s2, s3, s13
	s_lshr_b32 s4, s20, 16
	s_mul_i32 s4, s4, s21
	v_mul_lo_u32 v2, s4, v1
	v_bfe_u32 v3, v0, 10, 10
	v_mad_u32_u24 v2, v3, s21, v2
	v_bfe_u32 v0, v0, 20, 10
	v_add_lshl_u32 v0, v2, v0, 3
	v_mov_b32_e32 v6, s12
	v_add_u32_e32 v7, 0x800, v0
	v_pk_mov_b32 v[2:3], s[12:13], s[12:13] op_sel:[0,1]
	v_pk_mov_b32 v[4:5], s[16:17], s[16:17] op_sel:[0,1]
	ds_write2st64_b64 v0, v[4:5], v[2:3] offset1:4
	v_cndmask_b32_e64 v2, v6, v7, s[0:1]
	v_mov_b32_e32 v3, s2
	flat_load_dwordx2 v[4:5], v[2:3]
	s_xor_b64 s[4:5], s[0:1], -1
	v_pk_mov_b32 v[6:7], s[14:15], s[14:15] op_sel:[0,1]
	s_cbranch_vccnz .LBB34_2
; %bb.1:
	v_pk_mov_b32 v[2:3], s[12:13], s[12:13] op_sel:[0,1]
	flat_load_dwordx2 v[6:7], v[2:3] offset:8
.LBB34_2:
	s_and_b64 s[12:13], s[0:1], exec
	s_cselect_b32 s2, s3, s17
	v_mov_b32_e32 v2, s16
	v_cndmask_b32_e64 v2, v2, v0, s[0:1]
	v_mov_b32_e32 v3, s2
	flat_load_dwordx2 v[8:9], v[2:3]
	s_andn2_b64 vcc, exec, s[4:5]
	v_pk_mov_b32 v[10:11], s[18:19], s[18:19] op_sel:[0,1]
	s_cbranch_vccnz .LBB34_4
; %bb.3:
	v_pk_mov_b32 v[2:3], s[16:17], s[16:17] op_sel:[0,1]
	flat_load_dwordx2 v[10:11], v[2:3] offset:8
.LBB34_4:
	s_waitcnt vmcnt(0) lgkmcnt(0)
	v_cmp_eq_f64_e32 vcc, 0, v[4:5]
	v_cmp_eq_f64_e64 s[0:1], 0, v[6:7]
	s_and_b64 s[4:5], vcc, s[0:1]
	s_mov_b64 s[0:1], -1
	s_and_saveexec_b64 s[2:3], s[4:5]
; %bb.5:
	v_cmp_neq_f64_e32 vcc, 1.0, v[8:9]
	v_cmp_neq_f64_e64 s[0:1], 0, v[10:11]
	s_or_b64 s[0:1], vcc, s[0:1]
	s_orn2_b64 s[0:1], s[0:1], exec
; %bb.6:
	s_or_b64 exec, exec, s[2:3]
	s_and_saveexec_b64 s[2:3], s[0:1]
	s_cbranch_execz .LBB34_28
; %bb.7:
	s_load_dwordx2 s[0:1], s[6:7], 0x20
	s_mov_b32 s9, 0
	s_waitcnt lgkmcnt(0)
	s_cmp_eq_u64 s[0:1], 0
	s_cbranch_scc1 .LBB34_9
; %bb.8:
	s_lshl_b64 s[2:3], s[8:9], 3
	s_add_u32 s0, s0, s2
	s_addc_u32 s1, s1, s3
	s_load_dwordx2 s[0:1], s[0:1], 0x0
	s_waitcnt lgkmcnt(0)
	s_sub_u32 s8, s0, s10
	s_subb_u32 s9, s1, 0
.LBB34_9:
	s_load_dwordx2 s[20:21], s[6:7], 0x48
	v_lshrrev_b32_e32 v12, 4, v1
	v_mov_b32_e32 v13, 0
	s_waitcnt lgkmcnt(0)
	v_cmp_gt_i64_e32 vcc, s[20:21], v[12:13]
	s_and_b64 exec, exec, vcc
	s_cbranch_execz .LBB34_28
; %bb.10:
	s_load_dwordx8 s[12:19], s[6:7], 0x28
	s_lshl_b64 s[0:1], s[8:9], 3
	v_and_b32_e32 v14, 15, v1
	v_cmp_eq_f64_e32 vcc, 0, v[8:9]
	v_lshlrev_b32_e32 v2, 4, v14
	s_waitcnt lgkmcnt(0)
	s_add_u32 s2, s12, s0
	s_addc_u32 s3, s13, s1
	s_load_dwordx2 s[28:29], s[2:3], 0x0
	s_load_dwordx2 s[30:31], s[6:7], 0x68
	;; [unrolled: 1-line block ×3, first 2 shown]
	v_mov_b32_e32 v15, v13
	s_mov_b64 s[12:13], 0
	s_waitcnt lgkmcnt(0)
	s_sub_u32 s22, s28, s10
	s_subb_u32 s23, s29, 0
	s_add_u32 s2, s2, 8
	s_addc_u32 s3, s3, 0
	s_add_u32 s0, s14, s0
	s_addc_u32 s1, s15, s1
	s_cmp_eq_u64 s[14:15], 0
	s_cselect_b32 s1, s3, s1
	s_cselect_b32 s0, s2, s0
	s_load_dwordx2 s[4:5], s[0:1], 0x0
	s_load_dword s11, s[6:7], 0x0
	v_mov_b32_e32 v3, s35
	v_cmp_gt_u64_e64 s[0:1], s[20:21], v[14:15]
	v_cmp_eq_u32_e64 s[2:3], 15, v14
	s_waitcnt lgkmcnt(0)
	s_sub_u32 s14, s4, s10
	s_subb_u32 s15, s5, 0
	v_pk_mov_b32 v[0:1], s[4:5], s[4:5] op_sel:[0,1]
	s_cmp_lg_u32 s11, 0
	v_cmp_eq_f64_e64 s[4:5], 0, v[10:11]
	s_cselect_b64 s[24:25], -1, 0
	s_and_b64 s[26:27], vcc, s[4:5]
	s_mul_i32 s4, s8, s21
	s_mul_hi_u32 s5, s8, s20
	s_add_i32 s4, s5, s4
	s_mul_i32 s5, s9, s20
	s_add_i32 s5, s4, s5
	s_mul_i32 s4, s8, s20
	s_lshl_b64 s[4:5], s[4:5], 4
	v_add_co_u32_e32 v2, vcc, s34, v2
	s_add_u32 s11, s30, s4
	v_addc_co_u32_e32 v3, vcc, 0, v3, vcc
	s_addc_u32 s33, s31, s5
	v_add_co_u32_e32 v16, vcc, 8, v2
	s_mul_i32 s4, s21, s22
	s_mul_i32 s5, s20, s23
	v_mov_b32_e32 v2, s22
	v_addc_co_u32_e32 v17, vcc, 0, v3, vcc
	s_add_i32 s6, s5, s4
	v_mad_u64_u32 v[2:3], s[4:5], s20, v2, v[12:13]
	v_mad_u64_u32 v[18:19], s[4:5], s20, v2, 0
	v_add_u32_e32 v3, s6, v3
	s_mul_i32 s4, s20, s21
	s_mul_hi_u32 s5, s20, s20
	v_cmp_lt_i64_e32 vcc, s[28:29], v[0:1]
	v_mul_lo_u32 v3, s20, v3
	v_mul_lo_u32 v20, s21, v2
	s_add_i32 s5, s5, s4
	v_cndmask_b32_e64 v0, 0, 1, vcc
	s_lshl_b64 s[8:9], s[20:21], 4
	v_add3_u32 v19, v19, v3, v20
	s_add_i32 s36, s5, s4
	s_mul_i32 s37, s20, s20
	v_cmp_ne_u32_e64 s[4:5], 1, v0
	s_branch .LBB34_12
.LBB34_11:                              ;   in Loop: Header=BB34_12 Depth=1
	s_or_b64 exec, exec, s[6:7]
	v_add_co_u32_e32 v12, vcc, 16, v12
	v_addc_co_u32_e32 v13, vcc, 0, v13, vcc
	v_cmp_le_i64_e32 vcc, s[20:21], v[12:13]
	v_mov_b32_e32 v0, s9
	s_or_b64 s[12:13], vcc, s[12:13]
	v_add_co_u32_e32 v18, vcc, s8, v18
	v_addc_co_u32_e32 v19, vcc, v19, v0, vcc
	s_andn2_b64 exec, exec, s[12:13]
	s_cbranch_execz .LBB34_28
.LBB34_12:                              ; =>This Loop Header: Depth=1
                                        ;     Child Loop BB34_16 Depth 2
                                        ;       Child Loop BB34_19 Depth 3
	v_pk_mov_b32 v[0:1], 0, 0
	s_and_b64 vcc, exec, s[4:5]
	v_pk_mov_b32 v[2:3], v[0:1], v[0:1] op_sel:[0,1]
	s_cbranch_vccnz .LBB34_23
; %bb.13:                               ;   in Loop: Header=BB34_12 Depth=1
	v_pk_mov_b32 v[0:1], 0, 0
	v_pk_mov_b32 v[20:21], v[18:19], v[18:19] op_sel:[0,1]
	s_mov_b64 s[28:29], s[22:23]
	v_pk_mov_b32 v[2:3], v[0:1], v[0:1] op_sel:[0,1]
	s_branch .LBB34_16
.LBB34_14:                              ;   in Loop: Header=BB34_16 Depth=2
	s_or_b64 exec, exec, s[34:35]
.LBB34_15:                              ;   in Loop: Header=BB34_16 Depth=2
	s_or_b64 exec, exec, s[30:31]
	s_add_u32 s28, s28, 1
	v_mov_b32_e32 v22, s36
	v_add_co_u32_e32 v20, vcc, s37, v20
	s_addc_u32 s29, s29, 0
	v_addc_co_u32_e32 v21, vcc, v21, v22, vcc
	v_pk_mov_b32 v[22:23], s[14:15], s[14:15] op_sel:[0,1]
	v_cmp_ge_i64_e32 vcc, s[28:29], v[22:23]
	s_cbranch_vccnz .LBB34_23
.LBB34_16:                              ;   Parent Loop BB34_12 Depth=1
                                        ; =>  This Loop Header: Depth=2
                                        ;       Child Loop BB34_19 Depth 3
	s_and_saveexec_b64 s[30:31], s[0:1]
	s_cbranch_execz .LBB34_15
; %bb.17:                               ;   in Loop: Header=BB34_16 Depth=2
	s_lshl_b64 s[6:7], s[28:29], 3
	s_add_u32 s6, s16, s6
	s_addc_u32 s7, s17, s7
	s_load_dwordx2 s[6:7], s[6:7], 0x0
	s_mul_i32 s34, s28, s21
	s_mul_hi_u32 s35, s28, s20
	s_mul_i32 s38, s29, s20
	s_mul_i32 s39, s28, s20
	s_waitcnt lgkmcnt(0)
	s_sub_u32 s6, s6, s10
	s_subb_u32 s7, s7, 0
	s_add_i32 s34, s35, s34
	s_add_i32 s38, s34, s38
	s_mul_i32 s34, s9, s6
	s_mul_i32 s7, s8, s7
	v_mov_b32_e32 v22, s6
	s_add_i32 s34, s7, s34
	v_mad_u64_u32 v[22:23], s[6:7], s8, v22, v[16:17]
	v_add_u32_e32 v23, s34, v23
	s_mov_b64 s[34:35], 0
	v_pk_mov_b32 v[24:25], v[14:15], v[14:15] op_sel:[0,1]
	s_branch .LBB34_19
.LBB34_18:                              ;   in Loop: Header=BB34_19 Depth=3
	v_lshlrev_b64 v[26:27], 4, v[26:27]
	v_mov_b32_e32 v28, s19
	v_add_co_u32_e32 v34, vcc, s18, v26
	v_addc_co_u32_e32 v35, vcc, v28, v27, vcc
	global_load_dwordx4 v[26:29], v[22:23], off offset:-8
	global_load_dwordx4 v[30:33], v[34:35], off
	v_add_co_u32_e32 v24, vcc, 16, v24
	v_addc_co_u32_e32 v25, vcc, 0, v25, vcc
	v_add_co_u32_e32 v22, vcc, 0x100, v22
	v_cmp_le_i64_e64 s[6:7], s[20:21], v[24:25]
	s_or_b64 s[34:35], s[6:7], s[34:35]
	v_addc_co_u32_e32 v23, vcc, 0, v23, vcc
	s_waitcnt vmcnt(0)
	v_fmac_f64_e32 v[2:3], v[30:31], v[26:27]
	v_fmac_f64_e32 v[0:1], v[32:33], v[26:27]
	v_fma_f64 v[2:3], -v[32:33], v[28:29], v[2:3]
	v_fmac_f64_e32 v[0:1], v[30:31], v[28:29]
	s_andn2_b64 exec, exec, s[34:35]
	s_cbranch_execz .LBB34_14
.LBB34_19:                              ;   Parent Loop BB34_12 Depth=1
                                        ;     Parent Loop BB34_16 Depth=2
                                        ; =>    This Inner Loop Header: Depth=3
	s_and_b64 vcc, exec, s[24:25]
	s_cbranch_vccz .LBB34_21
; %bb.20:                               ;   in Loop: Header=BB34_19 Depth=3
	v_mov_b32_e32 v26, s38
	v_add_co_u32_e32 v27, vcc, s39, v24
	v_addc_co_u32_e32 v26, vcc, v25, v26, vcc
	v_mul_lo_u32 v28, v27, s21
	v_mul_lo_u32 v29, v26, s20
	v_mad_u64_u32 v[26:27], s[6:7], v27, s20, v[12:13]
	v_add3_u32 v27, v29, v27, v28
	s_cbranch_execnz .LBB34_18
	s_branch .LBB34_22
.LBB34_21:                              ;   in Loop: Header=BB34_19 Depth=3
                                        ; implicit-def: $vgpr26_vgpr27
.LBB34_22:                              ;   in Loop: Header=BB34_19 Depth=3
	v_add_co_u32_e32 v26, vcc, v20, v24
	v_addc_co_u32_e32 v27, vcc, v21, v25, vcc
	s_branch .LBB34_18
.LBB34_23:                              ;   in Loop: Header=BB34_12 Depth=1
	s_nop 0
	v_mov_b32_dpp v20, v2 row_shr:1 row_mask:0xf bank_mask:0xf
	v_mov_b32_dpp v21, v3 row_shr:1 row_mask:0xf bank_mask:0xf
	v_mov_b32_dpp v22, v0 row_shr:1 row_mask:0xf bank_mask:0xf
	v_mov_b32_dpp v23, v1 row_shr:1 row_mask:0xf bank_mask:0xf
	v_add_f64 v[2:3], v[2:3], v[20:21]
	v_add_f64 v[0:1], v[0:1], v[22:23]
	s_nop 0
	v_mov_b32_dpp v20, v2 row_shr:2 row_mask:0xf bank_mask:0xf
	v_mov_b32_dpp v21, v3 row_shr:2 row_mask:0xf bank_mask:0xf
	v_mov_b32_dpp v22, v0 row_shr:2 row_mask:0xf bank_mask:0xf
	v_mov_b32_dpp v23, v1 row_shr:2 row_mask:0xf bank_mask:0xf
	v_add_f64 v[2:3], v[2:3], v[20:21]
	v_add_f64 v[0:1], v[0:1], v[22:23]
	;; [unrolled: 7-line block ×3, first 2 shown]
	s_nop 0
	v_mov_b32_dpp v20, v2 row_shr:8 row_mask:0xf bank_mask:0xc
	v_mov_b32_dpp v21, v3 row_shr:8 row_mask:0xf bank_mask:0xc
	;; [unrolled: 1-line block ×4, first 2 shown]
	s_and_saveexec_b64 s[6:7], s[2:3]
	s_cbranch_execz .LBB34_11
; %bb.24:                               ;   in Loop: Header=BB34_12 Depth=1
	v_add_f64 v[24:25], v[2:3], v[20:21]
	v_add_f64 v[2:3], v[0:1], v[22:23]
	v_mul_f64 v[0:1], v[2:3], -v[6:7]
	v_mul_f64 v[2:3], v[4:5], v[2:3]
	v_lshlrev_b64 v[20:21], 4, v[12:13]
	v_fmac_f64_e32 v[0:1], v[4:5], v[24:25]
	v_fmac_f64_e32 v[2:3], v[6:7], v[24:25]
	s_and_saveexec_b64 s[28:29], s[26:27]
	s_xor_b64 s[28:29], exec, s[28:29]
	s_cbranch_execz .LBB34_26
; %bb.25:                               ;   in Loop: Header=BB34_12 Depth=1
	v_mov_b32_e32 v22, s33
	v_add_co_u32_e32 v20, vcc, s11, v20
	v_addc_co_u32_e32 v21, vcc, v22, v21, vcc
	global_store_dwordx4 v[20:21], v[0:3], off
                                        ; implicit-def: $vgpr20_vgpr21
                                        ; implicit-def: $vgpr0_vgpr1
.LBB34_26:                              ;   in Loop: Header=BB34_12 Depth=1
	s_andn2_saveexec_b64 s[28:29], s[28:29]
	s_cbranch_execz .LBB34_11
; %bb.27:                               ;   in Loop: Header=BB34_12 Depth=1
	v_mov_b32_e32 v22, s33
	v_add_co_u32_e32 v24, vcc, s11, v20
	v_addc_co_u32_e32 v25, vcc, v22, v21, vcc
	global_load_dwordx4 v[20:23], v[24:25], off
	s_waitcnt vmcnt(0)
	v_fmac_f64_e32 v[0:1], v[8:9], v[20:21]
	v_fmac_f64_e32 v[2:3], v[10:11], v[20:21]
	v_fma_f64 v[0:1], -v[10:11], v[22:23], v[0:1]
	v_fmac_f64_e32 v[2:3], v[8:9], v[22:23]
	global_store_dwordx4 v[24:25], v[0:3], off
	s_branch .LBB34_11
.LBB34_28:
	s_endpgm
	.section	.rodata,"a",@progbits
	.p2align	6, 0x0
	.amdhsa_kernel _ZN9rocsparseL22bsrxmvn_general_kernelILj256ELj16E21rocsparse_complex_numIdEllS2_S2_S2_EEv20rocsparse_direction_NS_24const_host_device_scalarIT1_EET3_PKS7_PKT2_SC_S9_PKT4_S7_PKT5_S6_PT6_21rocsparse_index_base_b
		.amdhsa_group_segment_fixed_size 4096
		.amdhsa_private_segment_fixed_size 0
		.amdhsa_kernarg_size 120
		.amdhsa_user_sgpr_count 8
		.amdhsa_user_sgpr_private_segment_buffer 1
		.amdhsa_user_sgpr_dispatch_ptr 1
		.amdhsa_user_sgpr_queue_ptr 0
		.amdhsa_user_sgpr_kernarg_segment_ptr 1
		.amdhsa_user_sgpr_dispatch_id 0
		.amdhsa_user_sgpr_flat_scratch_init 0
		.amdhsa_user_sgpr_kernarg_preload_length 0
		.amdhsa_user_sgpr_kernarg_preload_offset 0
		.amdhsa_user_sgpr_private_segment_size 0
		.amdhsa_uses_dynamic_stack 0
		.amdhsa_system_sgpr_private_segment_wavefront_offset 0
		.amdhsa_system_sgpr_workgroup_id_x 1
		.amdhsa_system_sgpr_workgroup_id_y 0
		.amdhsa_system_sgpr_workgroup_id_z 0
		.amdhsa_system_sgpr_workgroup_info 0
		.amdhsa_system_vgpr_workitem_id 2
		.amdhsa_next_free_vgpr 36
		.amdhsa_next_free_sgpr 40
		.amdhsa_accum_offset 36
		.amdhsa_reserve_vcc 1
		.amdhsa_reserve_flat_scratch 0
		.amdhsa_float_round_mode_32 0
		.amdhsa_float_round_mode_16_64 0
		.amdhsa_float_denorm_mode_32 3
		.amdhsa_float_denorm_mode_16_64 3
		.amdhsa_dx10_clamp 1
		.amdhsa_ieee_mode 1
		.amdhsa_fp16_overflow 0
		.amdhsa_tg_split 0
		.amdhsa_exception_fp_ieee_invalid_op 0
		.amdhsa_exception_fp_denorm_src 0
		.amdhsa_exception_fp_ieee_div_zero 0
		.amdhsa_exception_fp_ieee_overflow 0
		.amdhsa_exception_fp_ieee_underflow 0
		.amdhsa_exception_fp_ieee_inexact 0
		.amdhsa_exception_int_div_zero 0
	.end_amdhsa_kernel
	.section	.text._ZN9rocsparseL22bsrxmvn_general_kernelILj256ELj16E21rocsparse_complex_numIdEllS2_S2_S2_EEv20rocsparse_direction_NS_24const_host_device_scalarIT1_EET3_PKS7_PKT2_SC_S9_PKT4_S7_PKT5_S6_PT6_21rocsparse_index_base_b,"axG",@progbits,_ZN9rocsparseL22bsrxmvn_general_kernelILj256ELj16E21rocsparse_complex_numIdEllS2_S2_S2_EEv20rocsparse_direction_NS_24const_host_device_scalarIT1_EET3_PKS7_PKT2_SC_S9_PKT4_S7_PKT5_S6_PT6_21rocsparse_index_base_b,comdat
.Lfunc_end34:
	.size	_ZN9rocsparseL22bsrxmvn_general_kernelILj256ELj16E21rocsparse_complex_numIdEllS2_S2_S2_EEv20rocsparse_direction_NS_24const_host_device_scalarIT1_EET3_PKS7_PKT2_SC_S9_PKT4_S7_PKT5_S6_PT6_21rocsparse_index_base_b, .Lfunc_end34-_ZN9rocsparseL22bsrxmvn_general_kernelILj256ELj16E21rocsparse_complex_numIdEllS2_S2_S2_EEv20rocsparse_direction_NS_24const_host_device_scalarIT1_EET3_PKS7_PKT2_SC_S9_PKT4_S7_PKT5_S6_PT6_21rocsparse_index_base_b
                                        ; -- End function
	.section	.AMDGPU.csdata,"",@progbits
; Kernel info:
; codeLenInByte = 1524
; NumSgprs: 44
; NumVgprs: 36
; NumAgprs: 0
; TotalNumVgprs: 36
; ScratchSize: 0
; MemoryBound: 0
; FloatMode: 240
; IeeeMode: 1
; LDSByteSize: 4096 bytes/workgroup (compile time only)
; SGPRBlocks: 5
; VGPRBlocks: 4
; NumSGPRsForWavesPerEU: 44
; NumVGPRsForWavesPerEU: 36
; AccumOffset: 36
; Occupancy: 8
; WaveLimiterHint : 1
; COMPUTE_PGM_RSRC2:SCRATCH_EN: 0
; COMPUTE_PGM_RSRC2:USER_SGPR: 8
; COMPUTE_PGM_RSRC2:TRAP_HANDLER: 0
; COMPUTE_PGM_RSRC2:TGID_X_EN: 1
; COMPUTE_PGM_RSRC2:TGID_Y_EN: 0
; COMPUTE_PGM_RSRC2:TGID_Z_EN: 0
; COMPUTE_PGM_RSRC2:TIDIG_COMP_CNT: 2
; COMPUTE_PGM_RSRC3_GFX90A:ACCUM_OFFSET: 8
; COMPUTE_PGM_RSRC3_GFX90A:TG_SPLIT: 0
	.section	.text._ZN9rocsparseL22bsrxmvn_general_kernelILj1024ELj32E21rocsparse_complex_numIdEllS2_S2_S2_EEv20rocsparse_direction_NS_24const_host_device_scalarIT1_EET3_PKS7_PKT2_SC_S9_PKT4_S7_PKT5_S6_PT6_21rocsparse_index_base_b,"axG",@progbits,_ZN9rocsparseL22bsrxmvn_general_kernelILj1024ELj32E21rocsparse_complex_numIdEllS2_S2_S2_EEv20rocsparse_direction_NS_24const_host_device_scalarIT1_EET3_PKS7_PKT2_SC_S9_PKT4_S7_PKT5_S6_PT6_21rocsparse_index_base_b,comdat
	.globl	_ZN9rocsparseL22bsrxmvn_general_kernelILj1024ELj32E21rocsparse_complex_numIdEllS2_S2_S2_EEv20rocsparse_direction_NS_24const_host_device_scalarIT1_EET3_PKS7_PKT2_SC_S9_PKT4_S7_PKT5_S6_PT6_21rocsparse_index_base_b ; -- Begin function _ZN9rocsparseL22bsrxmvn_general_kernelILj1024ELj32E21rocsparse_complex_numIdEllS2_S2_S2_EEv20rocsparse_direction_NS_24const_host_device_scalarIT1_EET3_PKS7_PKT2_SC_S9_PKT4_S7_PKT5_S6_PT6_21rocsparse_index_base_b
	.p2align	8
	.type	_ZN9rocsparseL22bsrxmvn_general_kernelILj1024ELj32E21rocsparse_complex_numIdEllS2_S2_S2_EEv20rocsparse_direction_NS_24const_host_device_scalarIT1_EET3_PKS7_PKT2_SC_S9_PKT4_S7_PKT5_S6_PT6_21rocsparse_index_base_b,@function
_ZN9rocsparseL22bsrxmvn_general_kernelILj1024ELj32E21rocsparse_complex_numIdEllS2_S2_S2_EEv20rocsparse_direction_NS_24const_host_device_scalarIT1_EET3_PKS7_PKT2_SC_S9_PKT4_S7_PKT5_S6_PT6_21rocsparse_index_base_b: ; @_ZN9rocsparseL22bsrxmvn_general_kernelILj1024ELj32E21rocsparse_complex_numIdEllS2_S2_S2_EEv20rocsparse_direction_NS_24const_host_device_scalarIT1_EET3_PKS7_PKT2_SC_S9_PKT4_S7_PKT5_S6_PT6_21rocsparse_index_base_b
; %bb.0:
	s_load_dwordx2 s[10:11], s[6:7], 0x70
	s_load_dwordx4 s[12:15], s[6:7], 0x8
	s_load_dwordx2 s[20:21], s[4:5], 0x4
	s_load_dwordx4 s[16:19], s[6:7], 0x58
	s_mov_b64 s[2:3], src_shared_base
	v_and_b32_e32 v1, 0x3ff, v0
	s_waitcnt lgkmcnt(0)
	s_bitcmp1_b32 s11, 0
	s_cselect_b64 s[0:1], -1, 0
	s_and_b64 vcc, s[0:1], exec
	s_cselect_b32 s2, s3, s13
	s_lshr_b32 s4, s20, 16
	s_mul_i32 s4, s4, s21
	v_mul_lo_u32 v2, s4, v1
	v_bfe_u32 v3, v0, 10, 10
	v_mad_u32_u24 v2, v3, s21, v2
	v_bfe_u32 v0, v0, 20, 10
	v_add_lshl_u32 v0, v2, v0, 3
	v_mov_b32_e32 v6, s12
	v_add_u32_e32 v7, 0x2000, v0
	v_pk_mov_b32 v[2:3], s[12:13], s[12:13] op_sel:[0,1]
	v_pk_mov_b32 v[4:5], s[16:17], s[16:17] op_sel:[0,1]
	ds_write2st64_b64 v0, v[4:5], v[2:3] offset1:16
	v_cndmask_b32_e64 v2, v6, v7, s[0:1]
	v_mov_b32_e32 v3, s2
	flat_load_dwordx2 v[4:5], v[2:3]
	s_xor_b64 s[4:5], s[0:1], -1
	v_pk_mov_b32 v[6:7], s[14:15], s[14:15] op_sel:[0,1]
	s_cbranch_vccnz .LBB35_2
; %bb.1:
	v_pk_mov_b32 v[2:3], s[12:13], s[12:13] op_sel:[0,1]
	flat_load_dwordx2 v[6:7], v[2:3] offset:8
.LBB35_2:
	s_and_b64 s[12:13], s[0:1], exec
	s_cselect_b32 s2, s3, s17
	v_mov_b32_e32 v2, s16
	v_cndmask_b32_e64 v2, v2, v0, s[0:1]
	v_mov_b32_e32 v3, s2
	flat_load_dwordx2 v[8:9], v[2:3]
	s_andn2_b64 vcc, exec, s[4:5]
	v_pk_mov_b32 v[10:11], s[18:19], s[18:19] op_sel:[0,1]
	s_cbranch_vccnz .LBB35_4
; %bb.3:
	v_pk_mov_b32 v[2:3], s[16:17], s[16:17] op_sel:[0,1]
	flat_load_dwordx2 v[10:11], v[2:3] offset:8
.LBB35_4:
	s_waitcnt vmcnt(0) lgkmcnt(0)
	v_cmp_eq_f64_e32 vcc, 0, v[4:5]
	v_cmp_eq_f64_e64 s[0:1], 0, v[6:7]
	s_and_b64 s[4:5], vcc, s[0:1]
	s_mov_b64 s[0:1], -1
	s_and_saveexec_b64 s[2:3], s[4:5]
; %bb.5:
	v_cmp_neq_f64_e32 vcc, 1.0, v[8:9]
	v_cmp_neq_f64_e64 s[0:1], 0, v[10:11]
	s_or_b64 s[0:1], vcc, s[0:1]
	s_orn2_b64 s[0:1], s[0:1], exec
; %bb.6:
	s_or_b64 exec, exec, s[2:3]
	s_and_saveexec_b64 s[2:3], s[0:1]
	s_cbranch_execz .LBB35_28
; %bb.7:
	s_load_dwordx2 s[0:1], s[6:7], 0x20
	s_mov_b32 s9, 0
	s_waitcnt lgkmcnt(0)
	s_cmp_eq_u64 s[0:1], 0
	s_cbranch_scc1 .LBB35_9
; %bb.8:
	s_lshl_b64 s[2:3], s[8:9], 3
	s_add_u32 s0, s0, s2
	s_addc_u32 s1, s1, s3
	s_load_dwordx2 s[0:1], s[0:1], 0x0
	s_waitcnt lgkmcnt(0)
	s_sub_u32 s8, s0, s10
	s_subb_u32 s9, s1, 0
.LBB35_9:
	s_load_dwordx2 s[20:21], s[6:7], 0x48
	v_lshrrev_b32_e32 v12, 5, v1
	v_mov_b32_e32 v13, 0
	s_waitcnt lgkmcnt(0)
	v_cmp_gt_i64_e32 vcc, s[20:21], v[12:13]
	s_and_b64 exec, exec, vcc
	s_cbranch_execz .LBB35_28
; %bb.10:
	s_load_dwordx8 s[12:19], s[6:7], 0x28
	s_lshl_b64 s[0:1], s[8:9], 3
	v_and_b32_e32 v14, 31, v1
	v_cmp_eq_f64_e32 vcc, 0, v[8:9]
	v_lshlrev_b32_e32 v2, 4, v14
	s_waitcnt lgkmcnt(0)
	s_add_u32 s2, s12, s0
	s_addc_u32 s3, s13, s1
	s_load_dwordx2 s[30:31], s[2:3], 0x0
	s_load_dwordx2 s[28:29], s[6:7], 0x68
	;; [unrolled: 1-line block ×3, first 2 shown]
	v_mov_b32_e32 v15, v13
	s_mov_b64 s[12:13], 0
	s_waitcnt lgkmcnt(0)
	s_sub_u32 s22, s30, s10
	s_subb_u32 s23, s31, 0
	s_add_u32 s2, s2, 8
	s_addc_u32 s3, s3, 0
	s_add_u32 s0, s14, s0
	s_addc_u32 s1, s15, s1
	s_cmp_eq_u64 s[14:15], 0
	s_cselect_b32 s1, s3, s1
	s_cselect_b32 s0, s2, s0
	s_load_dwordx2 s[4:5], s[0:1], 0x0
	s_load_dword s11, s[6:7], 0x0
	v_mov_b32_e32 v3, s35
	v_cmp_gt_u64_e64 s[0:1], s[20:21], v[14:15]
	v_cmp_eq_u32_e64 s[2:3], 31, v14
	s_waitcnt lgkmcnt(0)
	s_sub_u32 s14, s4, s10
	s_subb_u32 s15, s5, 0
	v_pk_mov_b32 v[0:1], s[4:5], s[4:5] op_sel:[0,1]
	s_cmp_lg_u32 s11, 0
	v_cmp_eq_f64_e64 s[4:5], 0, v[10:11]
	s_cselect_b64 s[24:25], -1, 0
	s_and_b64 s[26:27], vcc, s[4:5]
	s_mul_i32 s4, s8, s21
	s_mul_hi_u32 s5, s8, s20
	s_add_i32 s4, s5, s4
	s_mul_i32 s5, s9, s20
	s_add_i32 s5, s4, s5
	s_mul_i32 s4, s8, s20
	s_lshl_b64 s[4:5], s[4:5], 4
	v_add_co_u32_e32 v2, vcc, s34, v2
	s_add_u32 s11, s28, s4
	v_addc_co_u32_e32 v3, vcc, 0, v3, vcc
	s_addc_u32 s33, s29, s5
	v_add_co_u32_e32 v16, vcc, 8, v2
	s_mul_i32 s4, s21, s22
	s_mul_i32 s5, s20, s23
	v_mov_b32_e32 v2, s22
	v_addc_co_u32_e32 v17, vcc, 0, v3, vcc
	s_add_i32 s6, s5, s4
	v_mad_u64_u32 v[2:3], s[4:5], s20, v2, v[12:13]
	v_mad_u64_u32 v[18:19], s[4:5], s20, v2, 0
	v_add_u32_e32 v3, s6, v3
	s_mul_i32 s4, s20, s21
	s_mul_hi_u32 s5, s20, s20
	v_cmp_lt_i64_e32 vcc, s[30:31], v[0:1]
	v_mul_lo_u32 v3, s20, v3
	v_mul_lo_u32 v20, s21, v2
	s_add_i32 s5, s5, s4
	v_cndmask_b32_e64 v0, 0, 1, vcc
	s_lshl_b64 s[8:9], s[20:21], 4
	v_add3_u32 v19, v19, v3, v20
	s_lshl_b64 s[28:29], s[20:21], 5
	s_add_i32 s38, s5, s4
	s_mul_i32 s39, s20, s20
	v_cmp_ne_u32_e64 s[4:5], 1, v0
	s_branch .LBB35_12
.LBB35_11:                              ;   in Loop: Header=BB35_12 Depth=1
	s_or_b64 exec, exec, s[6:7]
	v_add_co_u32_e32 v12, vcc, 32, v12
	v_addc_co_u32_e32 v13, vcc, 0, v13, vcc
	v_cmp_le_i64_e32 vcc, s[20:21], v[12:13]
	v_mov_b32_e32 v0, s29
	s_or_b64 s[12:13], vcc, s[12:13]
	v_add_co_u32_e32 v18, vcc, s28, v18
	v_addc_co_u32_e32 v19, vcc, v19, v0, vcc
	s_andn2_b64 exec, exec, s[12:13]
	s_cbranch_execz .LBB35_28
.LBB35_12:                              ; =>This Loop Header: Depth=1
                                        ;     Child Loop BB35_16 Depth 2
                                        ;       Child Loop BB35_19 Depth 3
	v_pk_mov_b32 v[0:1], 0, 0
	s_and_b64 vcc, exec, s[4:5]
	v_pk_mov_b32 v[2:3], v[0:1], v[0:1] op_sel:[0,1]
	s_cbranch_vccnz .LBB35_23
; %bb.13:                               ;   in Loop: Header=BB35_12 Depth=1
	v_pk_mov_b32 v[0:1], 0, 0
	v_pk_mov_b32 v[20:21], v[18:19], v[18:19] op_sel:[0,1]
	s_mov_b64 s[30:31], s[22:23]
	v_pk_mov_b32 v[2:3], v[0:1], v[0:1] op_sel:[0,1]
	s_branch .LBB35_16
.LBB35_14:                              ;   in Loop: Header=BB35_16 Depth=2
	s_or_b64 exec, exec, s[36:37]
.LBB35_15:                              ;   in Loop: Header=BB35_16 Depth=2
	s_or_b64 exec, exec, s[34:35]
	s_add_u32 s30, s30, 1
	v_mov_b32_e32 v22, s38
	v_add_co_u32_e32 v20, vcc, s39, v20
	s_addc_u32 s31, s31, 0
	v_addc_co_u32_e32 v21, vcc, v21, v22, vcc
	v_pk_mov_b32 v[22:23], s[14:15], s[14:15] op_sel:[0,1]
	v_cmp_ge_i64_e32 vcc, s[30:31], v[22:23]
	s_cbranch_vccnz .LBB35_23
.LBB35_16:                              ;   Parent Loop BB35_12 Depth=1
                                        ; =>  This Loop Header: Depth=2
                                        ;       Child Loop BB35_19 Depth 3
	s_and_saveexec_b64 s[34:35], s[0:1]
	s_cbranch_execz .LBB35_15
; %bb.17:                               ;   in Loop: Header=BB35_16 Depth=2
	s_lshl_b64 s[6:7], s[30:31], 3
	s_add_u32 s6, s16, s6
	s_addc_u32 s7, s17, s7
	s_load_dwordx2 s[6:7], s[6:7], 0x0
	s_mul_i32 s36, s30, s21
	s_mul_hi_u32 s37, s30, s20
	s_mul_i32 s40, s31, s20
	s_mul_i32 s41, s30, s20
	s_waitcnt lgkmcnt(0)
	s_sub_u32 s6, s6, s10
	s_subb_u32 s7, s7, 0
	s_add_i32 s36, s37, s36
	s_add_i32 s40, s36, s40
	s_mul_i32 s36, s9, s6
	s_mul_i32 s7, s8, s7
	v_mov_b32_e32 v22, s6
	s_add_i32 s36, s7, s36
	v_mad_u64_u32 v[22:23], s[6:7], s8, v22, v[16:17]
	v_add_u32_e32 v23, s36, v23
	s_mov_b64 s[36:37], 0
	v_pk_mov_b32 v[24:25], v[14:15], v[14:15] op_sel:[0,1]
	s_branch .LBB35_19
.LBB35_18:                              ;   in Loop: Header=BB35_19 Depth=3
	v_lshlrev_b64 v[26:27], 4, v[26:27]
	v_mov_b32_e32 v28, s19
	v_add_co_u32_e32 v34, vcc, s18, v26
	v_addc_co_u32_e32 v35, vcc, v28, v27, vcc
	global_load_dwordx4 v[26:29], v[22:23], off offset:-8
	global_load_dwordx4 v[30:33], v[34:35], off
	v_add_co_u32_e32 v24, vcc, 32, v24
	v_addc_co_u32_e32 v25, vcc, 0, v25, vcc
	v_add_co_u32_e32 v22, vcc, 0x200, v22
	v_cmp_le_i64_e64 s[6:7], s[20:21], v[24:25]
	s_or_b64 s[36:37], s[6:7], s[36:37]
	v_addc_co_u32_e32 v23, vcc, 0, v23, vcc
	s_waitcnt vmcnt(0)
	v_fmac_f64_e32 v[2:3], v[30:31], v[26:27]
	v_fmac_f64_e32 v[0:1], v[32:33], v[26:27]
	v_fma_f64 v[2:3], -v[32:33], v[28:29], v[2:3]
	v_fmac_f64_e32 v[0:1], v[30:31], v[28:29]
	s_andn2_b64 exec, exec, s[36:37]
	s_cbranch_execz .LBB35_14
.LBB35_19:                              ;   Parent Loop BB35_12 Depth=1
                                        ;     Parent Loop BB35_16 Depth=2
                                        ; =>    This Inner Loop Header: Depth=3
	s_and_b64 vcc, exec, s[24:25]
	s_cbranch_vccz .LBB35_21
; %bb.20:                               ;   in Loop: Header=BB35_19 Depth=3
	v_mov_b32_e32 v26, s40
	v_add_co_u32_e32 v27, vcc, s41, v24
	v_addc_co_u32_e32 v26, vcc, v25, v26, vcc
	v_mul_lo_u32 v28, v27, s21
	v_mul_lo_u32 v29, v26, s20
	v_mad_u64_u32 v[26:27], s[6:7], v27, s20, v[12:13]
	v_add3_u32 v27, v29, v27, v28
	s_cbranch_execnz .LBB35_18
	s_branch .LBB35_22
.LBB35_21:                              ;   in Loop: Header=BB35_19 Depth=3
                                        ; implicit-def: $vgpr26_vgpr27
.LBB35_22:                              ;   in Loop: Header=BB35_19 Depth=3
	v_add_co_u32_e32 v26, vcc, v20, v24
	v_addc_co_u32_e32 v27, vcc, v21, v25, vcc
	s_branch .LBB35_18
.LBB35_23:                              ;   in Loop: Header=BB35_12 Depth=1
	s_nop 0
	v_mov_b32_dpp v20, v2 row_shr:1 row_mask:0xf bank_mask:0xf
	v_mov_b32_dpp v21, v3 row_shr:1 row_mask:0xf bank_mask:0xf
	v_mov_b32_dpp v22, v0 row_shr:1 row_mask:0xf bank_mask:0xf
	v_mov_b32_dpp v23, v1 row_shr:1 row_mask:0xf bank_mask:0xf
	v_add_f64 v[2:3], v[2:3], v[20:21]
	v_add_f64 v[0:1], v[0:1], v[22:23]
	s_nop 0
	v_mov_b32_dpp v20, v2 row_shr:2 row_mask:0xf bank_mask:0xf
	v_mov_b32_dpp v21, v3 row_shr:2 row_mask:0xf bank_mask:0xf
	v_mov_b32_dpp v22, v0 row_shr:2 row_mask:0xf bank_mask:0xf
	v_mov_b32_dpp v23, v1 row_shr:2 row_mask:0xf bank_mask:0xf
	v_add_f64 v[2:3], v[2:3], v[20:21]
	v_add_f64 v[0:1], v[0:1], v[22:23]
	;; [unrolled: 7-line block ×4, first 2 shown]
	s_nop 0
	v_mov_b32_dpp v20, v2 row_bcast:15 row_mask:0xa bank_mask:0xf
	v_mov_b32_dpp v21, v3 row_bcast:15 row_mask:0xa bank_mask:0xf
	;; [unrolled: 1-line block ×4, first 2 shown]
	s_and_saveexec_b64 s[6:7], s[2:3]
	s_cbranch_execz .LBB35_11
; %bb.24:                               ;   in Loop: Header=BB35_12 Depth=1
	v_add_f64 v[24:25], v[2:3], v[20:21]
	v_add_f64 v[2:3], v[0:1], v[22:23]
	v_mul_f64 v[0:1], v[2:3], -v[6:7]
	v_mul_f64 v[2:3], v[4:5], v[2:3]
	v_lshlrev_b64 v[20:21], 4, v[12:13]
	v_fmac_f64_e32 v[0:1], v[4:5], v[24:25]
	v_fmac_f64_e32 v[2:3], v[6:7], v[24:25]
	s_and_saveexec_b64 s[30:31], s[26:27]
	s_xor_b64 s[30:31], exec, s[30:31]
	s_cbranch_execz .LBB35_26
; %bb.25:                               ;   in Loop: Header=BB35_12 Depth=1
	v_mov_b32_e32 v22, s33
	v_add_co_u32_e32 v20, vcc, s11, v20
	v_addc_co_u32_e32 v21, vcc, v22, v21, vcc
	global_store_dwordx4 v[20:21], v[0:3], off
                                        ; implicit-def: $vgpr20_vgpr21
                                        ; implicit-def: $vgpr0_vgpr1
.LBB35_26:                              ;   in Loop: Header=BB35_12 Depth=1
	s_andn2_saveexec_b64 s[30:31], s[30:31]
	s_cbranch_execz .LBB35_11
; %bb.27:                               ;   in Loop: Header=BB35_12 Depth=1
	v_mov_b32_e32 v22, s33
	v_add_co_u32_e32 v24, vcc, s11, v20
	v_addc_co_u32_e32 v25, vcc, v22, v21, vcc
	global_load_dwordx4 v[20:23], v[24:25], off
	s_waitcnt vmcnt(0)
	v_fmac_f64_e32 v[0:1], v[8:9], v[20:21]
	v_fmac_f64_e32 v[2:3], v[10:11], v[20:21]
	v_fma_f64 v[0:1], -v[10:11], v[22:23], v[0:1]
	v_fmac_f64_e32 v[2:3], v[8:9], v[22:23]
	global_store_dwordx4 v[24:25], v[0:3], off
	s_branch .LBB35_11
.LBB35_28:
	s_endpgm
	.section	.rodata,"a",@progbits
	.p2align	6, 0x0
	.amdhsa_kernel _ZN9rocsparseL22bsrxmvn_general_kernelILj1024ELj32E21rocsparse_complex_numIdEllS2_S2_S2_EEv20rocsparse_direction_NS_24const_host_device_scalarIT1_EET3_PKS7_PKT2_SC_S9_PKT4_S7_PKT5_S6_PT6_21rocsparse_index_base_b
		.amdhsa_group_segment_fixed_size 16384
		.amdhsa_private_segment_fixed_size 0
		.amdhsa_kernarg_size 120
		.amdhsa_user_sgpr_count 8
		.amdhsa_user_sgpr_private_segment_buffer 1
		.amdhsa_user_sgpr_dispatch_ptr 1
		.amdhsa_user_sgpr_queue_ptr 0
		.amdhsa_user_sgpr_kernarg_segment_ptr 1
		.amdhsa_user_sgpr_dispatch_id 0
		.amdhsa_user_sgpr_flat_scratch_init 0
		.amdhsa_user_sgpr_kernarg_preload_length 0
		.amdhsa_user_sgpr_kernarg_preload_offset 0
		.amdhsa_user_sgpr_private_segment_size 0
		.amdhsa_uses_dynamic_stack 0
		.amdhsa_system_sgpr_private_segment_wavefront_offset 0
		.amdhsa_system_sgpr_workgroup_id_x 1
		.amdhsa_system_sgpr_workgroup_id_y 0
		.amdhsa_system_sgpr_workgroup_id_z 0
		.amdhsa_system_sgpr_workgroup_info 0
		.amdhsa_system_vgpr_workitem_id 2
		.amdhsa_next_free_vgpr 36
		.amdhsa_next_free_sgpr 42
		.amdhsa_accum_offset 36
		.amdhsa_reserve_vcc 1
		.amdhsa_reserve_flat_scratch 0
		.amdhsa_float_round_mode_32 0
		.amdhsa_float_round_mode_16_64 0
		.amdhsa_float_denorm_mode_32 3
		.amdhsa_float_denorm_mode_16_64 3
		.amdhsa_dx10_clamp 1
		.amdhsa_ieee_mode 1
		.amdhsa_fp16_overflow 0
		.amdhsa_tg_split 0
		.amdhsa_exception_fp_ieee_invalid_op 0
		.amdhsa_exception_fp_denorm_src 0
		.amdhsa_exception_fp_ieee_div_zero 0
		.amdhsa_exception_fp_ieee_overflow 0
		.amdhsa_exception_fp_ieee_underflow 0
		.amdhsa_exception_fp_ieee_inexact 0
		.amdhsa_exception_int_div_zero 0
	.end_amdhsa_kernel
	.section	.text._ZN9rocsparseL22bsrxmvn_general_kernelILj1024ELj32E21rocsparse_complex_numIdEllS2_S2_S2_EEv20rocsparse_direction_NS_24const_host_device_scalarIT1_EET3_PKS7_PKT2_SC_S9_PKT4_S7_PKT5_S6_PT6_21rocsparse_index_base_b,"axG",@progbits,_ZN9rocsparseL22bsrxmvn_general_kernelILj1024ELj32E21rocsparse_complex_numIdEllS2_S2_S2_EEv20rocsparse_direction_NS_24const_host_device_scalarIT1_EET3_PKS7_PKT2_SC_S9_PKT4_S7_PKT5_S6_PT6_21rocsparse_index_base_b,comdat
.Lfunc_end35:
	.size	_ZN9rocsparseL22bsrxmvn_general_kernelILj1024ELj32E21rocsparse_complex_numIdEllS2_S2_S2_EEv20rocsparse_direction_NS_24const_host_device_scalarIT1_EET3_PKS7_PKT2_SC_S9_PKT4_S7_PKT5_S6_PT6_21rocsparse_index_base_b, .Lfunc_end35-_ZN9rocsparseL22bsrxmvn_general_kernelILj1024ELj32E21rocsparse_complex_numIdEllS2_S2_S2_EEv20rocsparse_direction_NS_24const_host_device_scalarIT1_EET3_PKS7_PKT2_SC_S9_PKT4_S7_PKT5_S6_PT6_21rocsparse_index_base_b
                                        ; -- End function
	.section	.AMDGPU.csdata,"",@progbits
; Kernel info:
; codeLenInByte = 1580
; NumSgprs: 46
; NumVgprs: 36
; NumAgprs: 0
; TotalNumVgprs: 36
; ScratchSize: 0
; MemoryBound: 0
; FloatMode: 240
; IeeeMode: 1
; LDSByteSize: 16384 bytes/workgroup (compile time only)
; SGPRBlocks: 5
; VGPRBlocks: 4
; NumSGPRsForWavesPerEU: 46
; NumVGPRsForWavesPerEU: 36
; AccumOffset: 36
; Occupancy: 8
; WaveLimiterHint : 1
; COMPUTE_PGM_RSRC2:SCRATCH_EN: 0
; COMPUTE_PGM_RSRC2:USER_SGPR: 8
; COMPUTE_PGM_RSRC2:TRAP_HANDLER: 0
; COMPUTE_PGM_RSRC2:TGID_X_EN: 1
; COMPUTE_PGM_RSRC2:TGID_Y_EN: 0
; COMPUTE_PGM_RSRC2:TGID_Z_EN: 0
; COMPUTE_PGM_RSRC2:TIDIG_COMP_CNT: 2
; COMPUTE_PGM_RSRC3_GFX90A:ACCUM_OFFSET: 8
; COMPUTE_PGM_RSRC3_GFX90A:TG_SPLIT: 0
	.section	.text._ZN9rocsparseL22bsrxmvn_general_kernelILj64ELj8EiiiaaiEEv20rocsparse_direction_NS_24const_host_device_scalarIT1_EET3_PKS5_PKT2_SA_S7_PKT4_S5_PKT5_S4_PT6_21rocsparse_index_base_b,"axG",@progbits,_ZN9rocsparseL22bsrxmvn_general_kernelILj64ELj8EiiiaaiEEv20rocsparse_direction_NS_24const_host_device_scalarIT1_EET3_PKS5_PKT2_SA_S7_PKT4_S5_PKT5_S4_PT6_21rocsparse_index_base_b,comdat
	.globl	_ZN9rocsparseL22bsrxmvn_general_kernelILj64ELj8EiiiaaiEEv20rocsparse_direction_NS_24const_host_device_scalarIT1_EET3_PKS5_PKT2_SA_S7_PKT4_S5_PKT5_S4_PT6_21rocsparse_index_base_b ; -- Begin function _ZN9rocsparseL22bsrxmvn_general_kernelILj64ELj8EiiiaaiEEv20rocsparse_direction_NS_24const_host_device_scalarIT1_EET3_PKS5_PKT2_SA_S7_PKT4_S5_PKT5_S4_PT6_21rocsparse_index_base_b
	.p2align	8
	.type	_ZN9rocsparseL22bsrxmvn_general_kernelILj64ELj8EiiiaaiEEv20rocsparse_direction_NS_24const_host_device_scalarIT1_EET3_PKS5_PKT2_SA_S7_PKT4_S5_PKT5_S4_PT6_21rocsparse_index_base_b,@function
_ZN9rocsparseL22bsrxmvn_general_kernelILj64ELj8EiiiaaiEEv20rocsparse_direction_NS_24const_host_device_scalarIT1_EET3_PKS5_PKT2_SA_S7_PKT4_S5_PKT5_S4_PT6_21rocsparse_index_base_b: ; @_ZN9rocsparseL22bsrxmvn_general_kernelILj64ELj8EiiiaaiEEv20rocsparse_direction_NS_24const_host_device_scalarIT1_EET3_PKS5_PKT2_SA_S7_PKT4_S5_PKT5_S4_PT6_21rocsparse_index_base_b
; %bb.0:
	s_load_dwordx2 s[24:25], s[4:5], 0x60
	s_load_dwordx2 s[8:9], s[4:5], 0x8
	s_mov_b64 s[10:11], -1
	s_waitcnt lgkmcnt(0)
	s_bitcmp1_b32 s25, 0
	s_cselect_b64 s[0:1], -1, 0
	s_xor_b64 s[2:3], s[0:1], -1
	s_and_b64 vcc, exec, s[2:3]
                                        ; implicit-def: $sgpr25
	s_cbranch_vccnz .LBB36_4
; %bb.1:
	s_load_dwordx2 s[0:1], s[4:5], 0x50
	s_andn2_b64 vcc, exec, s[10:11]
	s_cbranch_vccz .LBB36_5
.LBB36_2:
	s_and_b64 vcc, exec, s[2:3]
	s_cbranch_vccz .LBB36_6
.LBB36_3:
	s_waitcnt lgkmcnt(0)
	s_load_dword s33, s[0:1], 0x0
	s_cbranch_execz .LBB36_7
	s_branch .LBB36_8
.LBB36_4:
	s_load_dword s25, s[8:9], 0x0
	s_load_dwordx2 s[0:1], s[4:5], 0x50
	s_cbranch_execnz .LBB36_2
.LBB36_5:
	s_waitcnt lgkmcnt(0)
	s_mov_b32 s25, s8
	s_and_b64 vcc, exec, s[2:3]
	s_cbranch_vccnz .LBB36_3
.LBB36_6:
                                        ; implicit-def: $sgpr33
.LBB36_7:
	s_waitcnt lgkmcnt(0)
	s_mov_b32 s33, s0
.LBB36_8:
	s_waitcnt lgkmcnt(0)
	s_cmp_lg_u32 s25, 0
	s_cselect_b64 s[0:1], -1, 0
	s_cmp_lg_u32 s33, 1
	s_cselect_b64 s[2:3], -1, 0
	s_or_b64 s[0:1], s[0:1], s[2:3]
	s_andn2_b64 vcc, exec, s[0:1]
	s_cbranch_vccnz .LBB36_38
; %bb.9:
	s_load_dwordx2 s[0:1], s[4:5], 0x18
	s_waitcnt lgkmcnt(0)
	s_cmp_eq_u64 s[0:1], 0
	s_cbranch_scc1 .LBB36_11
; %bb.10:
	s_ashr_i32 s7, s6, 31
	s_lshl_b64 s[2:3], s[6:7], 2
	s_add_u32 s0, s0, s2
	s_addc_u32 s1, s1, s3
	s_load_dword s0, s[0:1], 0x0
	s_waitcnt lgkmcnt(0)
	s_sub_i32 s6, s0, s24
.LBB36_11:
	s_load_dword s48, s[4:5], 0x40
	v_lshrrev_b32_e32 v6, 3, v0
	s_waitcnt lgkmcnt(0)
	v_cmp_gt_i32_e32 vcc, s48, v6
	s_and_saveexec_b64 s[0:1], vcc
	s_cbranch_execz .LBB36_38
; %bb.12:
	s_load_dwordx8 s[16:23], s[4:5], 0x20
	s_ashr_i32 s7, s6, 31
	s_lshl_b64 s[0:1], s[6:7], 2
	v_and_b32_e32 v8, 7, v0
	v_or_b32_e32 v9, 8, v8
	s_waitcnt lgkmcnt(0)
	s_add_u32 s2, s16, s0
	s_addc_u32 s3, s17, s1
	s_load_dword s7, s[2:3], 0x0
	s_load_dwordx2 s[26:27], s[4:5], 0x58
	s_load_dwordx2 s[28:29], s[4:5], 0x48
	v_max_i32_e32 v0, s48, v9
	v_xad_u32 v0, v8, -1, v0
	s_waitcnt lgkmcnt(0)
	s_sub_i32 s49, s7, s24
	s_add_u32 s2, s2, 4
	s_addc_u32 s3, s3, 0
	s_add_u32 s0, s18, s0
	s_addc_u32 s1, s19, s1
	s_cmp_eq_u64 s[18:19], 0
	s_cselect_b32 s1, s3, s1
	s_cselect_b32 s0, s2, s0
	s_load_dword s2, s[0:1], 0x0
	s_load_dword s3, s[4:5], 0x0
	s_mul_i32 s53, s6, s48
	v_and_b32_e32 v20, -8, v0
	v_cmp_gt_u32_e64 s[36:37], 56, v0
	s_waitcnt lgkmcnt(0)
	s_sub_i32 s50, s2, s24
	s_cmp_lt_i32 s7, s2
	s_cselect_b64 s[10:11], -1, 0
	s_cmp_lg_u32 s3, 0
	s_cselect_b64 s[30:31], -1, 0
	s_cmp_lg_u32 s33, 0
	v_cmp_lt_u32_e64 s[6:7], 55, v0
	v_lshrrev_b32_e32 v0, 3, v0
	s_cselect_b64 s[34:35], -1, 0
	s_cmp_eq_u32 s3, 0
	s_mul_hi_u32 s51, s48, s48
	s_mul_i32 s52, s48, s48
	v_add_u32_e32 v0, 1, v0
	s_cselect_b64 s[2:3], -1, 0
	v_and_b32_e32 v21, 0x3ffffffc, v0
	s_ashr_i32 s12, s49, 31
	s_mul_i32 s13, s49, s51
	s_mul_hi_u32 s14, s49, s52
	v_cmp_ne_u32_e64 s[8:9], v0, v21
	s_add_i32 s13, s14, s13
	s_mul_i32 s12, s12, s52
	v_cndmask_b32_e64 v0, 0, 1, s[10:11]
	s_mov_b64 s[18:19], 0
	v_cmp_gt_u32_e64 s[0:1], s48, v8
	v_cmp_eq_u32_e64 s[4:5], 7, v8
	v_lshl_or_b32 v22, v21, 3, v8
	s_mov_b32 s54, s48
	s_add_i32 s55, s13, s12
	s_mul_i32 s56, s49, s52
	v_mul_lo_u32 v23, s48, v6
	s_lshl_b32 s57, s48, 3
	v_cmp_ne_u32_e64 s[10:11], 1, v0
	v_mov_b32_e32 v11, 0
	s_branch .LBB36_14
.LBB36_13:                              ;   in Loop: Header=BB36_14 Depth=1
	s_or_b64 exec, exec, s[12:13]
	v_add_u32_e32 v6, 8, v6
	v_cmp_le_i32_e32 vcc, s48, v6
	s_or_b64 s[18:19], vcc, s[18:19]
	v_add_u32_e32 v23, s57, v23
	s_andn2_b64 exec, exec, s[18:19]
	s_cbranch_execz .LBB36_38
.LBB36_14:                              ; =>This Loop Header: Depth=1
                                        ;     Child Loop BB36_19 Depth 2
                                        ;       Child Loop BB36_23 Depth 3
                                        ;       Child Loop BB36_29 Depth 3
	s_and_b64 vcc, exec, s[10:11]
	v_mov_b32_e32 v24, v11
	s_cbranch_vccnz .LBB36_33
; %bb.15:                               ;   in Loop: Header=BB36_14 Depth=1
	v_ashrrev_i32_e32 v0, 31, v23
	v_mov_b32_e32 v1, s55
	v_add_co_u32_e32 v12, vcc, s56, v23
	v_mul_lo_u32 v14, v6, s48
	v_addc_co_u32_e32 v13, vcc, v1, v0, vcc
	v_ashrrev_i32_e32 v7, 31, v6
	v_ashrrev_i32_e32 v15, 31, v14
	v_mov_b32_e32 v24, 0
	s_mov_b32 s38, s49
	s_branch .LBB36_19
.LBB36_16:                              ;   in Loop: Header=BB36_19 Depth=2
	s_or_b64 exec, exec, s[14:15]
.LBB36_17:                              ;   in Loop: Header=BB36_19 Depth=2
	s_or_b64 exec, exec, s[12:13]
.LBB36_18:                              ;   in Loop: Header=BB36_19 Depth=2
	s_or_b64 exec, exec, s[40:41]
	s_add_i32 s38, s38, 1
	v_mov_b32_e32 v0, s51
	v_add_co_u32_e32 v12, vcc, s52, v12
	s_cmp_ge_i32 s38, s50
	v_addc_co_u32_e32 v13, vcc, v13, v0, vcc
	s_cbranch_scc1 .LBB36_33
.LBB36_19:                              ;   Parent Loop BB36_14 Depth=1
                                        ; =>  This Loop Header: Depth=2
                                        ;       Child Loop BB36_23 Depth 3
                                        ;       Child Loop BB36_29 Depth 3
	s_and_saveexec_b64 s[40:41], s[0:1]
	s_cbranch_execz .LBB36_18
; %bb.20:                               ;   in Loop: Header=BB36_19 Depth=2
	s_ashr_i32 s39, s38, 31
	s_lshl_b64 s[12:13], s[38:39], 2
	s_add_u32 s12, s20, s12
	s_addc_u32 s13, s21, s13
	s_load_dword s12, s[12:13], 0x0
	s_mul_i32 s13, s51, s38
	v_mov_b32_e32 v0, s38
	s_mul_i32 s16, s52, s39
	s_add_i32 s16, s16, s13
	s_waitcnt lgkmcnt(0)
	s_sub_i32 s14, s12, s24
	v_mad_u64_u32 v[16:17], s[12:13], s52, v0, v[6:7]
	v_add_u32_e32 v17, s16, v17
	s_mul_i32 s39, s14, s48
	s_mov_b64 s[14:15], s[36:37]
	v_mov_b32_e32 v10, v8
	s_and_saveexec_b64 s[42:43], s[6:7]
	s_cbranch_execz .LBB36_26
; %bb.21:                               ;   in Loop: Header=BB36_19 Depth=2
	v_add_u32_e32 v0, s39, v8
	v_add_u32_e32 v1, v0, v20
	v_cmp_ge_i32_e32 vcc, v1, v0
	s_mov_b64 s[12:13], -1
	v_mov_b32_e32 v10, v8
	s_and_saveexec_b64 s[44:45], vcc
	s_cbranch_execz .LBB36_25
; %bb.22:                               ;   in Loop: Header=BB36_19 Depth=2
	s_mul_hi_u32 s12, s52, s38
	s_add_i32 s12, s16, s12
	s_mul_i32 s13, s52, s38
	v_mov_b32_e32 v1, s12
	v_add_co_u32_e32 v0, vcc, s13, v14
	v_addc_co_u32_e32 v1, vcc, v1, v15, vcc
	v_mov_b32_e32 v2, v16
	v_mov_b32_e32 v3, v17
	;; [unrolled: 1-line block ×4, first 2 shown]
	s_mov_b32 s58, s39
	s_mov_b64 s[46:47], 0
	v_mov_b32_e32 v10, 0
	v_mov_b32_e32 v25, v21
	v_pk_mov_b32 v[18:19], v[8:9], v[8:9] op_sel:[0,1]
	v_mov_b32_e32 v26, 0
	v_mov_b32_e32 v27, 0
.LBB36_23:                              ;   Parent Loop BB36_14 Depth=1
                                        ;     Parent Loop BB36_19 Depth=2
                                        ; =>    This Inner Loop Header: Depth=3
	v_mov_b32_e32 v28, v19
	v_add_co_u32_e64 v43, s[12:13], v4, v28
	v_add_u32_e32 v30, 16, v18
	v_addc_co_u32_e64 v44, s[12:13], 0, v5, s[12:13]
	v_add_co_u32_e64 v45, s[12:13], v0, v30
	v_add_u32_e32 v29, 16, v19
	v_add_co_u32_e32 v33, vcc, v0, v18
	v_addc_co_u32_e64 v46, s[12:13], 0, v1, s[12:13]
	v_mul_lo_u32 v32, v19, s54
	v_addc_co_u32_e32 v35, vcc, 0, v1, vcc
	v_add_co_u32_e64 v47, s[12:13], v4, v29
	v_mul_lo_u32 v31, v18, s48
	v_add_u32_e32 v34, s39, v18
	v_add_u32_e32 v36, s58, v19
	v_ashrrev_i32_e32 v41, 31, v32
	v_add_co_u32_e32 v32, vcc, v2, v32
	v_addc_co_u32_e64 v48, s[12:13], 0, v5, s[12:13]
	v_mov_b32_e32 v37, s29
	v_mul_lo_u32 v39, v30, s48
	v_mul_lo_u32 v40, v29, s54
	v_ashrrev_i32_e32 v42, 31, v31
	v_add_u32_e32 v49, s39, v30
	v_add_u32_e32 v50, s58, v29
	v_ashrrev_i32_e32 v51, 31, v36
	v_ashrrev_i32_e32 v29, 31, v34
	v_add_co_u32_e64 v28, s[12:13], s28, v34
	v_add_co_u32_e64 v30, s[14:15], s28, v36
	;; [unrolled: 1-line block ×3, first 2 shown]
	v_addc_co_u32_e32 v41, vcc, v3, v41, vcc
	v_ashrrev_i32_e32 v36, 31, v40
	v_add_co_u32_e32 v40, vcc, v2, v40
	v_cndmask_b32_e64 v53, v31, v33, s[2:3]
	v_addc_co_u32_e64 v29, s[12:13], v37, v29, s[12:13]
	v_addc_co_u32_e64 v31, s[12:13], v37, v51, s[14:15]
	;; [unrolled: 1-line block ×3, first 2 shown]
	v_cndmask_b32_e64 v43, v32, v43, s[2:3]
	v_ashrrev_i32_e32 v54, 31, v50
	v_ashrrev_i32_e32 v33, 31, v49
	v_add_co_u32_e64 v32, s[12:13], s28, v49
	v_add_co_u32_e64 v34, s[14:15], s28, v50
	v_addc_co_u32_e32 v50, vcc, v3, v36, vcc
	v_mov_b32_e32 v38, s23
	v_cndmask_b32_e64 v41, v41, v44, s[2:3]
	v_cndmask_b32_e64 v42, v42, v35, s[2:3]
	v_add_co_u32_e32 v36, vcc, s22, v43
	v_addc_co_u32_e64 v33, s[12:13], v37, v33, s[12:13]
	v_addc_co_u32_e64 v35, s[12:13], v37, v54, s[14:15]
	v_ashrrev_i32_e32 v52, 31, v39
	v_add_co_u32_e64 v39, s[16:17], v16, v39
	v_cndmask_b32_e64 v40, v40, v47, s[2:3]
	global_load_sbyte v43, v[28:29], off
	global_load_sbyte v44, v[30:31], off
	v_add_co_u32_e64 v28, s[12:13], s22, v53
	v_addc_co_u32_e32 v37, vcc, v38, v41, vcc
	v_addc_co_u32_e64 v49, s[16:17], v17, v52, s[16:17]
	v_cndmask_b32_e64 v39, v39, v45, s[2:3]
	v_cndmask_b32_e64 v31, v50, v48, s[2:3]
	v_addc_co_u32_e64 v29, s[12:13], v38, v42, s[12:13]
	v_add_co_u32_e32 v30, vcc, s22, v40
	v_cndmask_b32_e64 v45, v49, v46, s[2:3]
	global_load_sbyte v40, v[32:33], off
	s_nop 0
	global_load_sbyte v34, v[34:35], off
	v_add_co_u32_e64 v32, s[12:13], s22, v39
	v_addc_co_u32_e32 v31, vcc, v38, v31, vcc
	v_addc_co_u32_e64 v33, s[12:13], v38, v45, s[12:13]
	global_load_sbyte v28, v[28:29], off
	s_nop 0
	global_load_sbyte v29, v[36:37], off
	s_nop 0
	;; [unrolled: 2-line block ×3, first 2 shown]
	global_load_sbyte v31, v[32:33], off
	v_add_u32_e32 v25, -4, v25
	v_cmp_eq_u32_e32 vcc, 0, v25
	v_add_u32_e32 v19, 32, v19
	v_add_u32_e32 v18, 32, v18
	s_or_b64 s[46:47], vcc, s[46:47]
	s_waitcnt vmcnt(3)
	v_mad_i32_i24 v24, v43, v28, v24
	s_waitcnt vmcnt(2)
	v_mad_i32_i24 v10, v44, v29, v10
	s_waitcnt vmcnt(1)
	v_mad_i32_i24 v27, v34, v30, v27
	s_waitcnt vmcnt(0)
	v_mad_i32_i24 v26, v40, v31, v26
	s_andn2_b64 exec, exec, s[46:47]
	s_cbranch_execnz .LBB36_23
; %bb.24:                               ;   in Loop: Header=BB36_19 Depth=2
	s_or_b64 exec, exec, s[46:47]
	v_add_u32_e32 v0, v27, v10
	v_add3_u32 v24, v26, v24, v0
	s_orn2_b64 s[12:13], s[8:9], exec
	v_mov_b32_e32 v10, v22
.LBB36_25:                              ;   in Loop: Header=BB36_19 Depth=2
	s_or_b64 exec, exec, s[44:45]
	s_andn2_b64 s[14:15], s[36:37], exec
	s_and_b64 s[12:13], s[12:13], exec
	s_or_b64 s[14:15], s[14:15], s[12:13]
.LBB36_26:                              ;   in Loop: Header=BB36_19 Depth=2
	s_or_b64 exec, exec, s[42:43]
	s_and_saveexec_b64 s[12:13], s[14:15]
	s_cbranch_execz .LBB36_17
; %bb.27:                               ;   in Loop: Header=BB36_19 Depth=2
	v_mul_lo_u32 v4, s48, v10
	s_mov_b64 s[14:15], 0
	v_pk_mov_b32 v[0:1], v[10:11], v[10:11] op_sel:[0,1]
	s_branch .LBB36_29
.LBB36_28:                              ;   in Loop: Header=BB36_29 Depth=3
	v_mov_b32_e32 v5, s23
	v_add_co_u32_e32 v2, vcc, s22, v2
	v_addc_co_u32_e32 v3, vcc, v5, v3, vcc
	global_load_sbyte v5, v[2:3], off
	v_add_u32_e32 v2, s39, v0
	v_ashrrev_i32_e32 v3, 31, v2
	v_mov_b32_e32 v10, s29
	v_add_co_u32_e32 v2, vcc, s28, v2
	v_addc_co_u32_e32 v3, vcc, v10, v3, vcc
	global_load_sbyte v2, v[2:3], off
	v_add_co_u32_e32 v0, vcc, 8, v0
	v_addc_co_u32_e32 v1, vcc, 0, v1, vcc
	v_cmp_le_i32_e32 vcc, s48, v0
	s_or_b64 s[14:15], vcc, s[14:15]
	v_add_u32_e32 v4, s57, v4
	s_waitcnt vmcnt(0)
	v_mad_i32_i24 v24, v2, v5, v24
	s_andn2_b64 exec, exec, s[14:15]
	s_cbranch_execz .LBB36_16
.LBB36_29:                              ;   Parent Loop BB36_14 Depth=1
                                        ;     Parent Loop BB36_19 Depth=2
                                        ; =>    This Inner Loop Header: Depth=3
	s_and_b64 vcc, exec, s[30:31]
	s_cbranch_vccz .LBB36_31
; %bb.30:                               ;   in Loop: Header=BB36_29 Depth=3
	v_ashrrev_i32_e32 v3, 31, v4
	v_add_co_u32_e32 v2, vcc, v16, v4
	v_addc_co_u32_e32 v3, vcc, v17, v3, vcc
	s_cbranch_execnz .LBB36_28
	s_branch .LBB36_32
.LBB36_31:                              ;   in Loop: Header=BB36_29 Depth=3
                                        ; implicit-def: $vgpr2_vgpr3
.LBB36_32:                              ;   in Loop: Header=BB36_29 Depth=3
	v_add_co_u32_e32 v2, vcc, v12, v0
	v_addc_co_u32_e32 v3, vcc, v13, v1, vcc
	s_branch .LBB36_28
.LBB36_33:                              ;   in Loop: Header=BB36_14 Depth=1
	s_nop 0
	v_mov_b32_dpp v0, v24 row_shr:1 row_mask:0xf bank_mask:0xf
	v_add_u32_e32 v0, v0, v24
	s_nop 1
	v_mov_b32_dpp v1, v0 row_shr:2 row_mask:0xf bank_mask:0xf
	v_add_u32_e32 v0, v0, v1
	s_nop 1
	v_mov_b32_dpp v1, v0 row_shr:4 row_mask:0xf bank_mask:0xe
	s_and_saveexec_b64 s[12:13], s[4:5]
	s_cbranch_execz .LBB36_13
; %bb.34:                               ;   in Loop: Header=BB36_14 Depth=1
	v_add_u32_e32 v0, v0, v1
	v_add_u32_e32 v2, s53, v6
	s_andn2_b64 vcc, exec, s[34:35]
	v_mul_lo_u32 v0, v0, s25
	v_ashrrev_i32_e32 v3, 31, v2
	s_cbranch_vccnz .LBB36_36
; %bb.35:                               ;   in Loop: Header=BB36_14 Depth=1
	v_lshlrev_b64 v[4:5], 2, v[2:3]
	v_mov_b32_e32 v1, s27
	v_add_co_u32_e32 v4, vcc, s26, v4
	v_addc_co_u32_e32 v5, vcc, v1, v5, vcc
	global_load_dword v1, v[4:5], off
	s_waitcnt vmcnt(0)
	v_mad_u64_u32 v[12:13], s[14:15], v1, s33, v[0:1]
	global_store_dword v[4:5], v12, off
	s_cbranch_execnz .LBB36_13
	s_branch .LBB36_37
.LBB36_36:                              ;   in Loop: Header=BB36_14 Depth=1
.LBB36_37:                              ;   in Loop: Header=BB36_14 Depth=1
	v_lshlrev_b64 v[2:3], 2, v[2:3]
	v_mov_b32_e32 v1, s27
	v_add_co_u32_e32 v2, vcc, s26, v2
	v_addc_co_u32_e32 v3, vcc, v1, v3, vcc
	global_store_dword v[2:3], v0, off
	s_branch .LBB36_13
.LBB36_38:
	s_endpgm
	.section	.rodata,"a",@progbits
	.p2align	6, 0x0
	.amdhsa_kernel _ZN9rocsparseL22bsrxmvn_general_kernelILj64ELj8EiiiaaiEEv20rocsparse_direction_NS_24const_host_device_scalarIT1_EET3_PKS5_PKT2_SA_S7_PKT4_S5_PKT5_S4_PT6_21rocsparse_index_base_b
		.amdhsa_group_segment_fixed_size 0
		.amdhsa_private_segment_fixed_size 0
		.amdhsa_kernarg_size 104
		.amdhsa_user_sgpr_count 6
		.amdhsa_user_sgpr_private_segment_buffer 1
		.amdhsa_user_sgpr_dispatch_ptr 0
		.amdhsa_user_sgpr_queue_ptr 0
		.amdhsa_user_sgpr_kernarg_segment_ptr 1
		.amdhsa_user_sgpr_dispatch_id 0
		.amdhsa_user_sgpr_flat_scratch_init 0
		.amdhsa_user_sgpr_kernarg_preload_length 0
		.amdhsa_user_sgpr_kernarg_preload_offset 0
		.amdhsa_user_sgpr_private_segment_size 0
		.amdhsa_uses_dynamic_stack 0
		.amdhsa_system_sgpr_private_segment_wavefront_offset 0
		.amdhsa_system_sgpr_workgroup_id_x 1
		.amdhsa_system_sgpr_workgroup_id_y 0
		.amdhsa_system_sgpr_workgroup_id_z 0
		.amdhsa_system_sgpr_workgroup_info 0
		.amdhsa_system_vgpr_workitem_id 0
		.amdhsa_next_free_vgpr 55
		.amdhsa_next_free_sgpr 59
		.amdhsa_accum_offset 56
		.amdhsa_reserve_vcc 1
		.amdhsa_reserve_flat_scratch 0
		.amdhsa_float_round_mode_32 0
		.amdhsa_float_round_mode_16_64 0
		.amdhsa_float_denorm_mode_32 3
		.amdhsa_float_denorm_mode_16_64 3
		.amdhsa_dx10_clamp 1
		.amdhsa_ieee_mode 1
		.amdhsa_fp16_overflow 0
		.amdhsa_tg_split 0
		.amdhsa_exception_fp_ieee_invalid_op 0
		.amdhsa_exception_fp_denorm_src 0
		.amdhsa_exception_fp_ieee_div_zero 0
		.amdhsa_exception_fp_ieee_overflow 0
		.amdhsa_exception_fp_ieee_underflow 0
		.amdhsa_exception_fp_ieee_inexact 0
		.amdhsa_exception_int_div_zero 0
	.end_amdhsa_kernel
	.section	.text._ZN9rocsparseL22bsrxmvn_general_kernelILj64ELj8EiiiaaiEEv20rocsparse_direction_NS_24const_host_device_scalarIT1_EET3_PKS5_PKT2_SA_S7_PKT4_S5_PKT5_S4_PT6_21rocsparse_index_base_b,"axG",@progbits,_ZN9rocsparseL22bsrxmvn_general_kernelILj64ELj8EiiiaaiEEv20rocsparse_direction_NS_24const_host_device_scalarIT1_EET3_PKS5_PKT2_SA_S7_PKT4_S5_PKT5_S4_PT6_21rocsparse_index_base_b,comdat
.Lfunc_end36:
	.size	_ZN9rocsparseL22bsrxmvn_general_kernelILj64ELj8EiiiaaiEEv20rocsparse_direction_NS_24const_host_device_scalarIT1_EET3_PKS5_PKT2_SA_S7_PKT4_S5_PKT5_S4_PT6_21rocsparse_index_base_b, .Lfunc_end36-_ZN9rocsparseL22bsrxmvn_general_kernelILj64ELj8EiiiaaiEEv20rocsparse_direction_NS_24const_host_device_scalarIT1_EET3_PKS5_PKT2_SA_S7_PKT4_S5_PKT5_S4_PT6_21rocsparse_index_base_b
                                        ; -- End function
	.section	.AMDGPU.csdata,"",@progbits
; Kernel info:
; codeLenInByte = 1780
; NumSgprs: 63
; NumVgprs: 55
; NumAgprs: 0
; TotalNumVgprs: 55
; ScratchSize: 0
; MemoryBound: 0
; FloatMode: 240
; IeeeMode: 1
; LDSByteSize: 0 bytes/workgroup (compile time only)
; SGPRBlocks: 7
; VGPRBlocks: 6
; NumSGPRsForWavesPerEU: 63
; NumVGPRsForWavesPerEU: 55
; AccumOffset: 56
; Occupancy: 8
; WaveLimiterHint : 1
; COMPUTE_PGM_RSRC2:SCRATCH_EN: 0
; COMPUTE_PGM_RSRC2:USER_SGPR: 6
; COMPUTE_PGM_RSRC2:TRAP_HANDLER: 0
; COMPUTE_PGM_RSRC2:TGID_X_EN: 1
; COMPUTE_PGM_RSRC2:TGID_Y_EN: 0
; COMPUTE_PGM_RSRC2:TGID_Z_EN: 0
; COMPUTE_PGM_RSRC2:TIDIG_COMP_CNT: 0
; COMPUTE_PGM_RSRC3_GFX90A:ACCUM_OFFSET: 13
; COMPUTE_PGM_RSRC3_GFX90A:TG_SPLIT: 0
	.section	.text._ZN9rocsparseL22bsrxmvn_general_kernelILj256ELj16EiiiaaiEEv20rocsparse_direction_NS_24const_host_device_scalarIT1_EET3_PKS5_PKT2_SA_S7_PKT4_S5_PKT5_S4_PT6_21rocsparse_index_base_b,"axG",@progbits,_ZN9rocsparseL22bsrxmvn_general_kernelILj256ELj16EiiiaaiEEv20rocsparse_direction_NS_24const_host_device_scalarIT1_EET3_PKS5_PKT2_SA_S7_PKT4_S5_PKT5_S4_PT6_21rocsparse_index_base_b,comdat
	.globl	_ZN9rocsparseL22bsrxmvn_general_kernelILj256ELj16EiiiaaiEEv20rocsparse_direction_NS_24const_host_device_scalarIT1_EET3_PKS5_PKT2_SA_S7_PKT4_S5_PKT5_S4_PT6_21rocsparse_index_base_b ; -- Begin function _ZN9rocsparseL22bsrxmvn_general_kernelILj256ELj16EiiiaaiEEv20rocsparse_direction_NS_24const_host_device_scalarIT1_EET3_PKS5_PKT2_SA_S7_PKT4_S5_PKT5_S4_PT6_21rocsparse_index_base_b
	.p2align	8
	.type	_ZN9rocsparseL22bsrxmvn_general_kernelILj256ELj16EiiiaaiEEv20rocsparse_direction_NS_24const_host_device_scalarIT1_EET3_PKS5_PKT2_SA_S7_PKT4_S5_PKT5_S4_PT6_21rocsparse_index_base_b,@function
_ZN9rocsparseL22bsrxmvn_general_kernelILj256ELj16EiiiaaiEEv20rocsparse_direction_NS_24const_host_device_scalarIT1_EET3_PKS5_PKT2_SA_S7_PKT4_S5_PKT5_S4_PT6_21rocsparse_index_base_b: ; @_ZN9rocsparseL22bsrxmvn_general_kernelILj256ELj16EiiiaaiEEv20rocsparse_direction_NS_24const_host_device_scalarIT1_EET3_PKS5_PKT2_SA_S7_PKT4_S5_PKT5_S4_PT6_21rocsparse_index_base_b
; %bb.0:
	s_load_dwordx2 s[24:25], s[4:5], 0x60
	s_load_dwordx2 s[8:9], s[4:5], 0x8
	s_mov_b64 s[10:11], -1
	s_waitcnt lgkmcnt(0)
	s_bitcmp1_b32 s25, 0
	s_cselect_b64 s[0:1], -1, 0
	s_xor_b64 s[2:3], s[0:1], -1
	s_and_b64 vcc, exec, s[2:3]
                                        ; implicit-def: $sgpr25
	s_cbranch_vccnz .LBB37_4
; %bb.1:
	s_load_dwordx2 s[0:1], s[4:5], 0x50
	s_andn2_b64 vcc, exec, s[10:11]
	s_cbranch_vccz .LBB37_5
.LBB37_2:
	s_and_b64 vcc, exec, s[2:3]
	s_cbranch_vccz .LBB37_6
.LBB37_3:
	s_waitcnt lgkmcnt(0)
	s_load_dword s33, s[0:1], 0x0
	s_cbranch_execz .LBB37_7
	s_branch .LBB37_8
.LBB37_4:
	s_load_dword s25, s[8:9], 0x0
	s_load_dwordx2 s[0:1], s[4:5], 0x50
	s_cbranch_execnz .LBB37_2
.LBB37_5:
	s_waitcnt lgkmcnt(0)
	s_mov_b32 s25, s8
	s_and_b64 vcc, exec, s[2:3]
	s_cbranch_vccnz .LBB37_3
.LBB37_6:
                                        ; implicit-def: $sgpr33
.LBB37_7:
	s_waitcnt lgkmcnt(0)
	s_mov_b32 s33, s0
.LBB37_8:
	s_waitcnt lgkmcnt(0)
	s_cmp_lg_u32 s25, 0
	s_cselect_b64 s[0:1], -1, 0
	s_cmp_lg_u32 s33, 1
	s_cselect_b64 s[2:3], -1, 0
	s_or_b64 s[0:1], s[0:1], s[2:3]
	s_andn2_b64 vcc, exec, s[0:1]
	s_cbranch_vccnz .LBB37_38
; %bb.9:
	s_load_dwordx2 s[0:1], s[4:5], 0x18
	s_waitcnt lgkmcnt(0)
	s_cmp_eq_u64 s[0:1], 0
	s_cbranch_scc1 .LBB37_11
; %bb.10:
	s_ashr_i32 s7, s6, 31
	s_lshl_b64 s[2:3], s[6:7], 2
	s_add_u32 s0, s0, s2
	s_addc_u32 s1, s1, s3
	s_load_dword s0, s[0:1], 0x0
	s_waitcnt lgkmcnt(0)
	s_sub_i32 s6, s0, s24
.LBB37_11:
	s_load_dword s48, s[4:5], 0x40
	v_lshrrev_b32_e32 v6, 4, v0
	s_waitcnt lgkmcnt(0)
	v_cmp_gt_i32_e32 vcc, s48, v6
	s_and_saveexec_b64 s[0:1], vcc
	s_cbranch_execz .LBB37_38
; %bb.12:
	s_load_dwordx8 s[16:23], s[4:5], 0x20
	s_ashr_i32 s7, s6, 31
	s_lshl_b64 s[0:1], s[6:7], 2
	v_and_b32_e32 v8, 15, v0
	v_or_b32_e32 v9, 16, v8
	s_waitcnt lgkmcnt(0)
	s_add_u32 s2, s16, s0
	s_addc_u32 s3, s17, s1
	s_load_dword s7, s[2:3], 0x0
	s_load_dwordx2 s[26:27], s[4:5], 0x58
	s_load_dwordx2 s[28:29], s[4:5], 0x48
	v_max_i32_e32 v0, s48, v9
	s_mul_i32 s53, s6, s48
	s_waitcnt lgkmcnt(0)
	s_sub_i32 s49, s7, s24
	s_add_u32 s2, s2, 4
	s_addc_u32 s3, s3, 0
	s_add_u32 s0, s18, s0
	s_addc_u32 s1, s19, s1
	s_cmp_eq_u64 s[18:19], 0
	s_cselect_b32 s1, s3, s1
	s_cselect_b32 s0, s2, s0
	s_load_dword s2, s[0:1], 0x0
	s_load_dword s3, s[4:5], 0x0
	v_xad_u32 v0, v8, -1, v0
	s_movk_i32 s6, 0x70
	v_cmp_gt_u32_e64 s[36:37], s6, v0
	s_waitcnt lgkmcnt(0)
	s_sub_i32 s50, s2, s24
	s_cmp_lt_i32 s7, s2
	s_cselect_b64 s[10:11], -1, 0
	s_cmp_lg_u32 s3, 0
	s_movk_i32 s6, 0x6f
	s_cselect_b64 s[30:31], -1, 0
	s_cmp_lg_u32 s33, 0
	v_and_b32_e32 v20, -16, v0
	v_cmp_lt_u32_e64 s[6:7], s6, v0
	v_lshrrev_b32_e32 v0, 4, v0
	s_cselect_b64 s[34:35], -1, 0
	s_cmp_eq_u32 s3, 0
	s_mul_hi_u32 s51, s48, s48
	s_mul_i32 s52, s48, s48
	v_add_u32_e32 v0, 1, v0
	s_cselect_b64 s[2:3], -1, 0
	v_and_b32_e32 v21, 0x1ffffffc, v0
	s_ashr_i32 s12, s49, 31
	s_mul_i32 s13, s49, s51
	s_mul_hi_u32 s14, s49, s52
	v_cmp_ne_u32_e64 s[8:9], v0, v21
	s_add_i32 s13, s14, s13
	s_mul_i32 s12, s12, s52
	v_cndmask_b32_e64 v0, 0, 1, s[10:11]
	s_mov_b64 s[18:19], 0
	v_cmp_gt_u32_e64 s[0:1], s48, v8
	v_cmp_eq_u32_e64 s[4:5], 15, v8
	v_lshl_or_b32 v22, v21, 4, v8
	s_mov_b32 s54, s48
	s_add_i32 s55, s13, s12
	s_mul_i32 s56, s49, s52
	v_mul_lo_u32 v23, s48, v6
	s_lshl_b32 s57, s48, 4
	v_cmp_ne_u32_e64 s[10:11], 1, v0
	v_mov_b32_e32 v11, 0
	s_branch .LBB37_14
.LBB37_13:                              ;   in Loop: Header=BB37_14 Depth=1
	s_or_b64 exec, exec, s[12:13]
	v_add_u32_e32 v6, 16, v6
	v_cmp_le_i32_e32 vcc, s48, v6
	s_or_b64 s[18:19], vcc, s[18:19]
	v_add_u32_e32 v23, s57, v23
	s_andn2_b64 exec, exec, s[18:19]
	s_cbranch_execz .LBB37_38
.LBB37_14:                              ; =>This Loop Header: Depth=1
                                        ;     Child Loop BB37_19 Depth 2
                                        ;       Child Loop BB37_23 Depth 3
                                        ;       Child Loop BB37_29 Depth 3
	s_and_b64 vcc, exec, s[10:11]
	v_mov_b32_e32 v24, v11
	s_cbranch_vccnz .LBB37_33
; %bb.15:                               ;   in Loop: Header=BB37_14 Depth=1
	v_ashrrev_i32_e32 v0, 31, v23
	v_mov_b32_e32 v1, s55
	v_add_co_u32_e32 v12, vcc, s56, v23
	v_mul_lo_u32 v14, v6, s48
	v_addc_co_u32_e32 v13, vcc, v1, v0, vcc
	v_ashrrev_i32_e32 v7, 31, v6
	v_ashrrev_i32_e32 v15, 31, v14
	v_mov_b32_e32 v24, 0
	s_mov_b32 s38, s49
	s_branch .LBB37_19
.LBB37_16:                              ;   in Loop: Header=BB37_19 Depth=2
	s_or_b64 exec, exec, s[14:15]
.LBB37_17:                              ;   in Loop: Header=BB37_19 Depth=2
	s_or_b64 exec, exec, s[12:13]
.LBB37_18:                              ;   in Loop: Header=BB37_19 Depth=2
	s_or_b64 exec, exec, s[40:41]
	s_add_i32 s38, s38, 1
	v_mov_b32_e32 v0, s51
	v_add_co_u32_e32 v12, vcc, s52, v12
	s_cmp_ge_i32 s38, s50
	v_addc_co_u32_e32 v13, vcc, v13, v0, vcc
	s_cbranch_scc1 .LBB37_33
.LBB37_19:                              ;   Parent Loop BB37_14 Depth=1
                                        ; =>  This Loop Header: Depth=2
                                        ;       Child Loop BB37_23 Depth 3
                                        ;       Child Loop BB37_29 Depth 3
	s_and_saveexec_b64 s[40:41], s[0:1]
	s_cbranch_execz .LBB37_18
; %bb.20:                               ;   in Loop: Header=BB37_19 Depth=2
	s_ashr_i32 s39, s38, 31
	s_lshl_b64 s[12:13], s[38:39], 2
	s_add_u32 s12, s20, s12
	s_addc_u32 s13, s21, s13
	s_load_dword s12, s[12:13], 0x0
	s_mul_i32 s13, s51, s38
	v_mov_b32_e32 v0, s38
	s_mul_i32 s16, s52, s39
	s_add_i32 s16, s16, s13
	s_waitcnt lgkmcnt(0)
	s_sub_i32 s14, s12, s24
	v_mad_u64_u32 v[16:17], s[12:13], s52, v0, v[6:7]
	v_add_u32_e32 v17, s16, v17
	s_mul_i32 s39, s14, s48
	s_mov_b64 s[14:15], s[36:37]
	v_mov_b32_e32 v10, v8
	s_and_saveexec_b64 s[42:43], s[6:7]
	s_cbranch_execz .LBB37_26
; %bb.21:                               ;   in Loop: Header=BB37_19 Depth=2
	v_add_u32_e32 v0, s39, v8
	v_add_u32_e32 v1, v0, v20
	v_cmp_ge_i32_e32 vcc, v1, v0
	s_mov_b64 s[12:13], -1
	v_mov_b32_e32 v10, v8
	s_and_saveexec_b64 s[44:45], vcc
	s_cbranch_execz .LBB37_25
; %bb.22:                               ;   in Loop: Header=BB37_19 Depth=2
	s_mul_hi_u32 s12, s52, s38
	s_add_i32 s12, s16, s12
	s_mul_i32 s13, s52, s38
	v_mov_b32_e32 v1, s12
	v_add_co_u32_e32 v0, vcc, s13, v14
	v_addc_co_u32_e32 v1, vcc, v1, v15, vcc
	v_mov_b32_e32 v2, v16
	v_mov_b32_e32 v3, v17
	;; [unrolled: 1-line block ×4, first 2 shown]
	s_mov_b32 s58, s39
	s_mov_b64 s[46:47], 0
	v_mov_b32_e32 v10, 0
	v_mov_b32_e32 v25, v21
	v_pk_mov_b32 v[18:19], v[8:9], v[8:9] op_sel:[0,1]
	v_mov_b32_e32 v26, 0
	v_mov_b32_e32 v27, 0
.LBB37_23:                              ;   Parent Loop BB37_14 Depth=1
                                        ;     Parent Loop BB37_19 Depth=2
                                        ; =>    This Inner Loop Header: Depth=3
	v_mov_b32_e32 v28, v19
	v_add_co_u32_e64 v43, s[12:13], v4, v28
	v_add_u32_e32 v30, 32, v18
	v_addc_co_u32_e64 v44, s[12:13], 0, v5, s[12:13]
	v_add_co_u32_e64 v45, s[12:13], v0, v30
	v_add_u32_e32 v29, 32, v19
	v_add_co_u32_e32 v33, vcc, v0, v18
	v_addc_co_u32_e64 v46, s[12:13], 0, v1, s[12:13]
	v_mul_lo_u32 v32, v19, s54
	v_addc_co_u32_e32 v35, vcc, 0, v1, vcc
	v_add_co_u32_e64 v47, s[12:13], v4, v29
	v_mul_lo_u32 v31, v18, s48
	v_add_u32_e32 v34, s39, v18
	v_add_u32_e32 v36, s58, v19
	v_ashrrev_i32_e32 v41, 31, v32
	v_add_co_u32_e32 v32, vcc, v2, v32
	v_addc_co_u32_e64 v48, s[12:13], 0, v5, s[12:13]
	v_mov_b32_e32 v37, s29
	v_mul_lo_u32 v39, v30, s48
	v_mul_lo_u32 v40, v29, s54
	v_ashrrev_i32_e32 v42, 31, v31
	v_add_u32_e32 v49, s39, v30
	v_add_u32_e32 v50, s58, v29
	v_ashrrev_i32_e32 v51, 31, v36
	v_ashrrev_i32_e32 v29, 31, v34
	v_add_co_u32_e64 v28, s[12:13], s28, v34
	v_add_co_u32_e64 v30, s[14:15], s28, v36
	;; [unrolled: 1-line block ×3, first 2 shown]
	v_addc_co_u32_e32 v41, vcc, v3, v41, vcc
	v_ashrrev_i32_e32 v36, 31, v40
	v_add_co_u32_e32 v40, vcc, v2, v40
	v_cndmask_b32_e64 v53, v31, v33, s[2:3]
	v_addc_co_u32_e64 v29, s[12:13], v37, v29, s[12:13]
	v_addc_co_u32_e64 v31, s[12:13], v37, v51, s[14:15]
	v_addc_co_u32_e64 v42, s[16:17], v17, v42, s[16:17]
	v_cndmask_b32_e64 v43, v32, v43, s[2:3]
	v_ashrrev_i32_e32 v54, 31, v50
	v_ashrrev_i32_e32 v33, 31, v49
	v_add_co_u32_e64 v32, s[12:13], s28, v49
	v_add_co_u32_e64 v34, s[14:15], s28, v50
	v_addc_co_u32_e32 v50, vcc, v3, v36, vcc
	v_mov_b32_e32 v38, s23
	v_cndmask_b32_e64 v41, v41, v44, s[2:3]
	v_cndmask_b32_e64 v42, v42, v35, s[2:3]
	v_add_co_u32_e32 v36, vcc, s22, v43
	v_addc_co_u32_e64 v33, s[12:13], v37, v33, s[12:13]
	v_addc_co_u32_e64 v35, s[12:13], v37, v54, s[14:15]
	v_ashrrev_i32_e32 v52, 31, v39
	v_add_co_u32_e64 v39, s[16:17], v16, v39
	v_cndmask_b32_e64 v40, v40, v47, s[2:3]
	global_load_sbyte v43, v[28:29], off
	global_load_sbyte v44, v[30:31], off
	v_add_co_u32_e64 v28, s[12:13], s22, v53
	v_addc_co_u32_e32 v37, vcc, v38, v41, vcc
	v_addc_co_u32_e64 v49, s[16:17], v17, v52, s[16:17]
	v_cndmask_b32_e64 v39, v39, v45, s[2:3]
	v_cndmask_b32_e64 v31, v50, v48, s[2:3]
	v_addc_co_u32_e64 v29, s[12:13], v38, v42, s[12:13]
	v_add_co_u32_e32 v30, vcc, s22, v40
	v_cndmask_b32_e64 v45, v49, v46, s[2:3]
	global_load_sbyte v40, v[32:33], off
	s_nop 0
	global_load_sbyte v34, v[34:35], off
	v_add_co_u32_e64 v32, s[12:13], s22, v39
	v_addc_co_u32_e32 v31, vcc, v38, v31, vcc
	v_addc_co_u32_e64 v33, s[12:13], v38, v45, s[12:13]
	global_load_sbyte v28, v[28:29], off
	s_nop 0
	global_load_sbyte v29, v[36:37], off
	s_nop 0
	;; [unrolled: 2-line block ×3, first 2 shown]
	global_load_sbyte v31, v[32:33], off
	v_add_u32_e32 v25, -4, v25
	v_cmp_eq_u32_e32 vcc, 0, v25
	v_add_u32_e32 v19, 64, v19
	v_add_u32_e32 v18, 64, v18
	s_or_b64 s[46:47], vcc, s[46:47]
	s_waitcnt vmcnt(3)
	v_mad_i32_i24 v24, v43, v28, v24
	s_waitcnt vmcnt(2)
	v_mad_i32_i24 v10, v44, v29, v10
	;; [unrolled: 2-line block ×4, first 2 shown]
	s_andn2_b64 exec, exec, s[46:47]
	s_cbranch_execnz .LBB37_23
; %bb.24:                               ;   in Loop: Header=BB37_19 Depth=2
	s_or_b64 exec, exec, s[46:47]
	v_add_u32_e32 v0, v27, v10
	v_add3_u32 v24, v26, v24, v0
	s_orn2_b64 s[12:13], s[8:9], exec
	v_mov_b32_e32 v10, v22
.LBB37_25:                              ;   in Loop: Header=BB37_19 Depth=2
	s_or_b64 exec, exec, s[44:45]
	s_andn2_b64 s[14:15], s[36:37], exec
	s_and_b64 s[12:13], s[12:13], exec
	s_or_b64 s[14:15], s[14:15], s[12:13]
.LBB37_26:                              ;   in Loop: Header=BB37_19 Depth=2
	s_or_b64 exec, exec, s[42:43]
	s_and_saveexec_b64 s[12:13], s[14:15]
	s_cbranch_execz .LBB37_17
; %bb.27:                               ;   in Loop: Header=BB37_19 Depth=2
	v_mul_lo_u32 v4, s48, v10
	s_mov_b64 s[14:15], 0
	v_pk_mov_b32 v[0:1], v[10:11], v[10:11] op_sel:[0,1]
	s_branch .LBB37_29
.LBB37_28:                              ;   in Loop: Header=BB37_29 Depth=3
	v_mov_b32_e32 v5, s23
	v_add_co_u32_e32 v2, vcc, s22, v2
	v_addc_co_u32_e32 v3, vcc, v5, v3, vcc
	global_load_sbyte v5, v[2:3], off
	v_add_u32_e32 v2, s39, v0
	v_ashrrev_i32_e32 v3, 31, v2
	v_mov_b32_e32 v10, s29
	v_add_co_u32_e32 v2, vcc, s28, v2
	v_addc_co_u32_e32 v3, vcc, v10, v3, vcc
	global_load_sbyte v2, v[2:3], off
	v_add_co_u32_e32 v0, vcc, 16, v0
	v_addc_co_u32_e32 v1, vcc, 0, v1, vcc
	v_cmp_le_i32_e32 vcc, s48, v0
	s_or_b64 s[14:15], vcc, s[14:15]
	v_add_u32_e32 v4, s57, v4
	s_waitcnt vmcnt(0)
	v_mad_i32_i24 v24, v2, v5, v24
	s_andn2_b64 exec, exec, s[14:15]
	s_cbranch_execz .LBB37_16
.LBB37_29:                              ;   Parent Loop BB37_14 Depth=1
                                        ;     Parent Loop BB37_19 Depth=2
                                        ; =>    This Inner Loop Header: Depth=3
	s_and_b64 vcc, exec, s[30:31]
	s_cbranch_vccz .LBB37_31
; %bb.30:                               ;   in Loop: Header=BB37_29 Depth=3
	v_ashrrev_i32_e32 v3, 31, v4
	v_add_co_u32_e32 v2, vcc, v16, v4
	v_addc_co_u32_e32 v3, vcc, v17, v3, vcc
	s_cbranch_execnz .LBB37_28
	s_branch .LBB37_32
.LBB37_31:                              ;   in Loop: Header=BB37_29 Depth=3
                                        ; implicit-def: $vgpr2_vgpr3
.LBB37_32:                              ;   in Loop: Header=BB37_29 Depth=3
	v_add_co_u32_e32 v2, vcc, v12, v0
	v_addc_co_u32_e32 v3, vcc, v13, v1, vcc
	s_branch .LBB37_28
.LBB37_33:                              ;   in Loop: Header=BB37_14 Depth=1
	s_nop 0
	v_mov_b32_dpp v0, v24 row_shr:1 row_mask:0xf bank_mask:0xf
	v_add_u32_e32 v0, v0, v24
	s_nop 1
	v_mov_b32_dpp v1, v0 row_shr:2 row_mask:0xf bank_mask:0xf
	v_add_u32_e32 v0, v0, v1
	;; [unrolled: 3-line block ×3, first 2 shown]
	s_nop 1
	v_mov_b32_dpp v1, v0 row_shr:8 row_mask:0xf bank_mask:0xc
	s_and_saveexec_b64 s[12:13], s[4:5]
	s_cbranch_execz .LBB37_13
; %bb.34:                               ;   in Loop: Header=BB37_14 Depth=1
	v_add_u32_e32 v0, v0, v1
	v_add_u32_e32 v2, s53, v6
	s_andn2_b64 vcc, exec, s[34:35]
	v_mul_lo_u32 v0, v0, s25
	v_ashrrev_i32_e32 v3, 31, v2
	s_cbranch_vccnz .LBB37_36
; %bb.35:                               ;   in Loop: Header=BB37_14 Depth=1
	v_lshlrev_b64 v[4:5], 2, v[2:3]
	v_mov_b32_e32 v1, s27
	v_add_co_u32_e32 v4, vcc, s26, v4
	v_addc_co_u32_e32 v5, vcc, v1, v5, vcc
	global_load_dword v1, v[4:5], off
	s_waitcnt vmcnt(0)
	v_mad_u64_u32 v[12:13], s[14:15], v1, s33, v[0:1]
	global_store_dword v[4:5], v12, off
	s_cbranch_execnz .LBB37_13
	s_branch .LBB37_37
.LBB37_36:                              ;   in Loop: Header=BB37_14 Depth=1
.LBB37_37:                              ;   in Loop: Header=BB37_14 Depth=1
	v_lshlrev_b64 v[2:3], 2, v[2:3]
	v_mov_b32_e32 v1, s27
	v_add_co_u32_e32 v2, vcc, s26, v2
	v_addc_co_u32_e32 v3, vcc, v1, v3, vcc
	global_store_dword v[2:3], v0, off
	s_branch .LBB37_13
.LBB37_38:
	s_endpgm
	.section	.rodata,"a",@progbits
	.p2align	6, 0x0
	.amdhsa_kernel _ZN9rocsparseL22bsrxmvn_general_kernelILj256ELj16EiiiaaiEEv20rocsparse_direction_NS_24const_host_device_scalarIT1_EET3_PKS5_PKT2_SA_S7_PKT4_S5_PKT5_S4_PT6_21rocsparse_index_base_b
		.amdhsa_group_segment_fixed_size 0
		.amdhsa_private_segment_fixed_size 0
		.amdhsa_kernarg_size 104
		.amdhsa_user_sgpr_count 6
		.amdhsa_user_sgpr_private_segment_buffer 1
		.amdhsa_user_sgpr_dispatch_ptr 0
		.amdhsa_user_sgpr_queue_ptr 0
		.amdhsa_user_sgpr_kernarg_segment_ptr 1
		.amdhsa_user_sgpr_dispatch_id 0
		.amdhsa_user_sgpr_flat_scratch_init 0
		.amdhsa_user_sgpr_kernarg_preload_length 0
		.amdhsa_user_sgpr_kernarg_preload_offset 0
		.amdhsa_user_sgpr_private_segment_size 0
		.amdhsa_uses_dynamic_stack 0
		.amdhsa_system_sgpr_private_segment_wavefront_offset 0
		.amdhsa_system_sgpr_workgroup_id_x 1
		.amdhsa_system_sgpr_workgroup_id_y 0
		.amdhsa_system_sgpr_workgroup_id_z 0
		.amdhsa_system_sgpr_workgroup_info 0
		.amdhsa_system_vgpr_workitem_id 0
		.amdhsa_next_free_vgpr 55
		.amdhsa_next_free_sgpr 59
		.amdhsa_accum_offset 56
		.amdhsa_reserve_vcc 1
		.amdhsa_reserve_flat_scratch 0
		.amdhsa_float_round_mode_32 0
		.amdhsa_float_round_mode_16_64 0
		.amdhsa_float_denorm_mode_32 3
		.amdhsa_float_denorm_mode_16_64 3
		.amdhsa_dx10_clamp 1
		.amdhsa_ieee_mode 1
		.amdhsa_fp16_overflow 0
		.amdhsa_tg_split 0
		.amdhsa_exception_fp_ieee_invalid_op 0
		.amdhsa_exception_fp_denorm_src 0
		.amdhsa_exception_fp_ieee_div_zero 0
		.amdhsa_exception_fp_ieee_overflow 0
		.amdhsa_exception_fp_ieee_underflow 0
		.amdhsa_exception_fp_ieee_inexact 0
		.amdhsa_exception_int_div_zero 0
	.end_amdhsa_kernel
	.section	.text._ZN9rocsparseL22bsrxmvn_general_kernelILj256ELj16EiiiaaiEEv20rocsparse_direction_NS_24const_host_device_scalarIT1_EET3_PKS5_PKT2_SA_S7_PKT4_S5_PKT5_S4_PT6_21rocsparse_index_base_b,"axG",@progbits,_ZN9rocsparseL22bsrxmvn_general_kernelILj256ELj16EiiiaaiEEv20rocsparse_direction_NS_24const_host_device_scalarIT1_EET3_PKS5_PKT2_SA_S7_PKT4_S5_PKT5_S4_PT6_21rocsparse_index_base_b,comdat
.Lfunc_end37:
	.size	_ZN9rocsparseL22bsrxmvn_general_kernelILj256ELj16EiiiaaiEEv20rocsparse_direction_NS_24const_host_device_scalarIT1_EET3_PKS5_PKT2_SA_S7_PKT4_S5_PKT5_S4_PT6_21rocsparse_index_base_b, .Lfunc_end37-_ZN9rocsparseL22bsrxmvn_general_kernelILj256ELj16EiiiaaiEEv20rocsparse_direction_NS_24const_host_device_scalarIT1_EET3_PKS5_PKT2_SA_S7_PKT4_S5_PKT5_S4_PT6_21rocsparse_index_base_b
                                        ; -- End function
	.section	.AMDGPU.csdata,"",@progbits
; Kernel info:
; codeLenInByte = 1804
; NumSgprs: 63
; NumVgprs: 55
; NumAgprs: 0
; TotalNumVgprs: 55
; ScratchSize: 0
; MemoryBound: 0
; FloatMode: 240
; IeeeMode: 1
; LDSByteSize: 0 bytes/workgroup (compile time only)
; SGPRBlocks: 7
; VGPRBlocks: 6
; NumSGPRsForWavesPerEU: 63
; NumVGPRsForWavesPerEU: 55
; AccumOffset: 56
; Occupancy: 8
; WaveLimiterHint : 1
; COMPUTE_PGM_RSRC2:SCRATCH_EN: 0
; COMPUTE_PGM_RSRC2:USER_SGPR: 6
; COMPUTE_PGM_RSRC2:TRAP_HANDLER: 0
; COMPUTE_PGM_RSRC2:TGID_X_EN: 1
; COMPUTE_PGM_RSRC2:TGID_Y_EN: 0
; COMPUTE_PGM_RSRC2:TGID_Z_EN: 0
; COMPUTE_PGM_RSRC2:TIDIG_COMP_CNT: 0
; COMPUTE_PGM_RSRC3_GFX90A:ACCUM_OFFSET: 13
; COMPUTE_PGM_RSRC3_GFX90A:TG_SPLIT: 0
	.section	.text._ZN9rocsparseL22bsrxmvn_general_kernelILj1024ELj32EiiiaaiEEv20rocsparse_direction_NS_24const_host_device_scalarIT1_EET3_PKS5_PKT2_SA_S7_PKT4_S5_PKT5_S4_PT6_21rocsparse_index_base_b,"axG",@progbits,_ZN9rocsparseL22bsrxmvn_general_kernelILj1024ELj32EiiiaaiEEv20rocsparse_direction_NS_24const_host_device_scalarIT1_EET3_PKS5_PKT2_SA_S7_PKT4_S5_PKT5_S4_PT6_21rocsparse_index_base_b,comdat
	.globl	_ZN9rocsparseL22bsrxmvn_general_kernelILj1024ELj32EiiiaaiEEv20rocsparse_direction_NS_24const_host_device_scalarIT1_EET3_PKS5_PKT2_SA_S7_PKT4_S5_PKT5_S4_PT6_21rocsparse_index_base_b ; -- Begin function _ZN9rocsparseL22bsrxmvn_general_kernelILj1024ELj32EiiiaaiEEv20rocsparse_direction_NS_24const_host_device_scalarIT1_EET3_PKS5_PKT2_SA_S7_PKT4_S5_PKT5_S4_PT6_21rocsparse_index_base_b
	.p2align	8
	.type	_ZN9rocsparseL22bsrxmvn_general_kernelILj1024ELj32EiiiaaiEEv20rocsparse_direction_NS_24const_host_device_scalarIT1_EET3_PKS5_PKT2_SA_S7_PKT4_S5_PKT5_S4_PT6_21rocsparse_index_base_b,@function
_ZN9rocsparseL22bsrxmvn_general_kernelILj1024ELj32EiiiaaiEEv20rocsparse_direction_NS_24const_host_device_scalarIT1_EET3_PKS5_PKT2_SA_S7_PKT4_S5_PKT5_S4_PT6_21rocsparse_index_base_b: ; @_ZN9rocsparseL22bsrxmvn_general_kernelILj1024ELj32EiiiaaiEEv20rocsparse_direction_NS_24const_host_device_scalarIT1_EET3_PKS5_PKT2_SA_S7_PKT4_S5_PKT5_S4_PT6_21rocsparse_index_base_b
; %bb.0:
	s_load_dwordx2 s[24:25], s[4:5], 0x60
	s_load_dwordx2 s[8:9], s[4:5], 0x8
	s_mov_b64 s[10:11], -1
	s_waitcnt lgkmcnt(0)
	s_bitcmp1_b32 s25, 0
	s_cselect_b64 s[0:1], -1, 0
	s_xor_b64 s[2:3], s[0:1], -1
	s_and_b64 vcc, exec, s[2:3]
                                        ; implicit-def: $sgpr25
	s_cbranch_vccnz .LBB38_4
; %bb.1:
	s_load_dwordx2 s[0:1], s[4:5], 0x50
	s_andn2_b64 vcc, exec, s[10:11]
	s_cbranch_vccz .LBB38_5
.LBB38_2:
	s_and_b64 vcc, exec, s[2:3]
	s_cbranch_vccz .LBB38_6
.LBB38_3:
	s_waitcnt lgkmcnt(0)
	s_load_dword s33, s[0:1], 0x0
	s_cbranch_execz .LBB38_7
	s_branch .LBB38_8
.LBB38_4:
	s_load_dword s25, s[8:9], 0x0
	s_load_dwordx2 s[0:1], s[4:5], 0x50
	s_cbranch_execnz .LBB38_2
.LBB38_5:
	s_waitcnt lgkmcnt(0)
	s_mov_b32 s25, s8
	s_and_b64 vcc, exec, s[2:3]
	s_cbranch_vccnz .LBB38_3
.LBB38_6:
                                        ; implicit-def: $sgpr33
.LBB38_7:
	s_waitcnt lgkmcnt(0)
	s_mov_b32 s33, s0
.LBB38_8:
	s_waitcnt lgkmcnt(0)
	s_cmp_lg_u32 s25, 0
	s_cselect_b64 s[0:1], -1, 0
	s_cmp_lg_u32 s33, 1
	s_cselect_b64 s[2:3], -1, 0
	s_or_b64 s[0:1], s[0:1], s[2:3]
	s_andn2_b64 vcc, exec, s[0:1]
	s_cbranch_vccnz .LBB38_38
; %bb.9:
	s_load_dwordx2 s[0:1], s[4:5], 0x18
	s_waitcnt lgkmcnt(0)
	s_cmp_eq_u64 s[0:1], 0
	s_cbranch_scc1 .LBB38_11
; %bb.10:
	s_ashr_i32 s7, s6, 31
	s_lshl_b64 s[2:3], s[6:7], 2
	s_add_u32 s0, s0, s2
	s_addc_u32 s1, s1, s3
	s_load_dword s0, s[0:1], 0x0
	s_waitcnt lgkmcnt(0)
	s_sub_i32 s6, s0, s24
.LBB38_11:
	s_load_dword s48, s[4:5], 0x40
	v_lshrrev_b32_e32 v6, 5, v0
	s_waitcnt lgkmcnt(0)
	v_cmp_gt_i32_e32 vcc, s48, v6
	s_and_saveexec_b64 s[0:1], vcc
	s_cbranch_execz .LBB38_38
; %bb.12:
	s_load_dwordx8 s[16:23], s[4:5], 0x20
	s_ashr_i32 s7, s6, 31
	s_lshl_b64 s[0:1], s[6:7], 2
	v_and_b32_e32 v8, 31, v0
	v_or_b32_e32 v9, 32, v8
	s_waitcnt lgkmcnt(0)
	s_add_u32 s2, s16, s0
	s_addc_u32 s3, s17, s1
	s_load_dword s7, s[2:3], 0x0
	s_load_dwordx2 s[26:27], s[4:5], 0x58
	s_load_dwordx2 s[28:29], s[4:5], 0x48
	v_max_i32_e32 v0, s48, v9
	s_mul_i32 s53, s6, s48
	s_waitcnt lgkmcnt(0)
	s_sub_i32 s49, s7, s24
	s_add_u32 s2, s2, 4
	s_addc_u32 s3, s3, 0
	s_add_u32 s0, s18, s0
	s_addc_u32 s1, s19, s1
	s_cmp_eq_u64 s[18:19], 0
	s_cselect_b32 s1, s3, s1
	s_cselect_b32 s0, s2, s0
	s_load_dword s2, s[0:1], 0x0
	s_load_dword s3, s[4:5], 0x0
	v_xad_u32 v0, v8, -1, v0
	s_movk_i32 s6, 0xe0
	v_cmp_gt_u32_e64 s[36:37], s6, v0
	s_waitcnt lgkmcnt(0)
	s_sub_i32 s50, s2, s24
	s_cmp_lt_i32 s7, s2
	s_cselect_b64 s[10:11], -1, 0
	s_cmp_lg_u32 s3, 0
	s_movk_i32 s6, 0xdf
	s_cselect_b64 s[30:31], -1, 0
	s_cmp_lg_u32 s33, 0
	v_and_b32_e32 v20, 0xffffffe0, v0
	v_cmp_lt_u32_e64 s[6:7], s6, v0
	v_lshrrev_b32_e32 v0, 5, v0
	s_cselect_b64 s[34:35], -1, 0
	s_cmp_eq_u32 s3, 0
	s_mul_hi_u32 s51, s48, s48
	s_mul_i32 s52, s48, s48
	v_add_u32_e32 v0, 1, v0
	s_cselect_b64 s[2:3], -1, 0
	v_and_b32_e32 v21, 0xffffffc, v0
	s_ashr_i32 s12, s49, 31
	s_mul_i32 s13, s49, s51
	s_mul_hi_u32 s14, s49, s52
	v_cmp_ne_u32_e64 s[8:9], v0, v21
	s_add_i32 s13, s14, s13
	s_mul_i32 s12, s12, s52
	v_cndmask_b32_e64 v0, 0, 1, s[10:11]
	s_mov_b64 s[18:19], 0
	v_cmp_gt_u32_e64 s[0:1], s48, v8
	v_cmp_eq_u32_e64 s[4:5], 31, v8
	v_lshl_or_b32 v22, v21, 5, v8
	s_mov_b32 s54, s48
	s_add_i32 s55, s13, s12
	s_mul_i32 s56, s49, s52
	v_mul_lo_u32 v23, s48, v6
	s_lshl_b32 s57, s48, 5
	v_cmp_ne_u32_e64 s[10:11], 1, v0
	v_mov_b32_e32 v11, 0
	s_branch .LBB38_14
.LBB38_13:                              ;   in Loop: Header=BB38_14 Depth=1
	s_or_b64 exec, exec, s[12:13]
	v_add_u32_e32 v6, 32, v6
	v_cmp_le_i32_e32 vcc, s48, v6
	s_or_b64 s[18:19], vcc, s[18:19]
	v_add_u32_e32 v23, s57, v23
	s_andn2_b64 exec, exec, s[18:19]
	s_cbranch_execz .LBB38_38
.LBB38_14:                              ; =>This Loop Header: Depth=1
                                        ;     Child Loop BB38_19 Depth 2
                                        ;       Child Loop BB38_23 Depth 3
                                        ;       Child Loop BB38_29 Depth 3
	s_and_b64 vcc, exec, s[10:11]
	v_mov_b32_e32 v24, v11
	s_cbranch_vccnz .LBB38_33
; %bb.15:                               ;   in Loop: Header=BB38_14 Depth=1
	v_ashrrev_i32_e32 v0, 31, v23
	v_mov_b32_e32 v1, s55
	v_add_co_u32_e32 v12, vcc, s56, v23
	v_mul_lo_u32 v14, v6, s48
	v_addc_co_u32_e32 v13, vcc, v1, v0, vcc
	v_mov_b32_e32 v7, v11
	v_ashrrev_i32_e32 v15, 31, v14
	v_mov_b32_e32 v24, 0
	s_mov_b32 s38, s49
	s_branch .LBB38_19
.LBB38_16:                              ;   in Loop: Header=BB38_19 Depth=2
	s_or_b64 exec, exec, s[14:15]
.LBB38_17:                              ;   in Loop: Header=BB38_19 Depth=2
	s_or_b64 exec, exec, s[12:13]
.LBB38_18:                              ;   in Loop: Header=BB38_19 Depth=2
	s_or_b64 exec, exec, s[40:41]
	s_add_i32 s38, s38, 1
	v_mov_b32_e32 v0, s51
	v_add_co_u32_e32 v12, vcc, s52, v12
	s_cmp_ge_i32 s38, s50
	v_addc_co_u32_e32 v13, vcc, v13, v0, vcc
	s_cbranch_scc1 .LBB38_33
.LBB38_19:                              ;   Parent Loop BB38_14 Depth=1
                                        ; =>  This Loop Header: Depth=2
                                        ;       Child Loop BB38_23 Depth 3
                                        ;       Child Loop BB38_29 Depth 3
	s_and_saveexec_b64 s[40:41], s[0:1]
	s_cbranch_execz .LBB38_18
; %bb.20:                               ;   in Loop: Header=BB38_19 Depth=2
	s_ashr_i32 s39, s38, 31
	s_lshl_b64 s[12:13], s[38:39], 2
	s_add_u32 s12, s20, s12
	s_addc_u32 s13, s21, s13
	s_load_dword s12, s[12:13], 0x0
	s_mul_i32 s13, s51, s38
	v_mov_b32_e32 v0, s38
	s_mul_i32 s16, s52, s39
	s_add_i32 s16, s16, s13
	s_waitcnt lgkmcnt(0)
	s_sub_i32 s14, s12, s24
	v_mad_u64_u32 v[16:17], s[12:13], s52, v0, v[6:7]
	v_add_u32_e32 v17, s16, v17
	s_mul_i32 s39, s14, s48
	s_mov_b64 s[14:15], s[36:37]
	v_mov_b32_e32 v10, v8
	s_and_saveexec_b64 s[42:43], s[6:7]
	s_cbranch_execz .LBB38_26
; %bb.21:                               ;   in Loop: Header=BB38_19 Depth=2
	v_add_u32_e32 v0, s39, v8
	v_add_u32_e32 v1, v0, v20
	v_cmp_ge_i32_e32 vcc, v1, v0
	s_mov_b64 s[12:13], -1
	v_mov_b32_e32 v10, v8
	s_and_saveexec_b64 s[44:45], vcc
	s_cbranch_execz .LBB38_25
; %bb.22:                               ;   in Loop: Header=BB38_19 Depth=2
	s_mul_hi_u32 s12, s52, s38
	s_add_i32 s12, s16, s12
	s_mul_i32 s13, s52, s38
	v_mov_b32_e32 v1, s12
	v_add_co_u32_e32 v0, vcc, s13, v14
	v_addc_co_u32_e32 v1, vcc, v1, v15, vcc
	v_mov_b32_e32 v2, v16
	v_mov_b32_e32 v3, v17
	;; [unrolled: 1-line block ×4, first 2 shown]
	s_mov_b32 s58, s39
	s_mov_b64 s[46:47], 0
	v_mov_b32_e32 v10, 0
	v_mov_b32_e32 v25, v21
	v_pk_mov_b32 v[18:19], v[8:9], v[8:9] op_sel:[0,1]
	v_mov_b32_e32 v26, 0
	v_mov_b32_e32 v27, 0
.LBB38_23:                              ;   Parent Loop BB38_14 Depth=1
                                        ;     Parent Loop BB38_19 Depth=2
                                        ; =>    This Inner Loop Header: Depth=3
	v_mov_b32_e32 v28, v19
	v_add_co_u32_e64 v43, s[12:13], v4, v28
	v_add_u32_e32 v30, 64, v18
	v_addc_co_u32_e64 v44, s[12:13], 0, v5, s[12:13]
	v_add_co_u32_e64 v45, s[12:13], v0, v30
	v_add_u32_e32 v29, 64, v19
	v_add_co_u32_e32 v33, vcc, v0, v18
	v_addc_co_u32_e64 v46, s[12:13], 0, v1, s[12:13]
	v_mul_lo_u32 v32, v19, s54
	v_addc_co_u32_e32 v35, vcc, 0, v1, vcc
	v_add_co_u32_e64 v47, s[12:13], v4, v29
	v_mul_lo_u32 v31, v18, s48
	v_add_u32_e32 v34, s39, v18
	v_add_u32_e32 v36, s58, v19
	v_ashrrev_i32_e32 v41, 31, v32
	v_add_co_u32_e32 v32, vcc, v2, v32
	v_addc_co_u32_e64 v48, s[12:13], 0, v5, s[12:13]
	v_mov_b32_e32 v37, s29
	v_mul_lo_u32 v39, v30, s48
	v_mul_lo_u32 v40, v29, s54
	v_ashrrev_i32_e32 v42, 31, v31
	v_add_u32_e32 v49, s39, v30
	v_add_u32_e32 v50, s58, v29
	v_ashrrev_i32_e32 v51, 31, v36
	v_ashrrev_i32_e32 v29, 31, v34
	v_add_co_u32_e64 v28, s[12:13], s28, v34
	v_add_co_u32_e64 v30, s[14:15], s28, v36
	;; [unrolled: 1-line block ×3, first 2 shown]
	v_addc_co_u32_e32 v41, vcc, v3, v41, vcc
	v_ashrrev_i32_e32 v36, 31, v40
	v_add_co_u32_e32 v40, vcc, v2, v40
	v_cndmask_b32_e64 v53, v31, v33, s[2:3]
	v_addc_co_u32_e64 v29, s[12:13], v37, v29, s[12:13]
	v_addc_co_u32_e64 v31, s[12:13], v37, v51, s[14:15]
	;; [unrolled: 1-line block ×3, first 2 shown]
	v_cndmask_b32_e64 v43, v32, v43, s[2:3]
	v_ashrrev_i32_e32 v54, 31, v50
	v_ashrrev_i32_e32 v33, 31, v49
	v_add_co_u32_e64 v32, s[12:13], s28, v49
	v_add_co_u32_e64 v34, s[14:15], s28, v50
	v_addc_co_u32_e32 v50, vcc, v3, v36, vcc
	v_mov_b32_e32 v38, s23
	v_cndmask_b32_e64 v41, v41, v44, s[2:3]
	v_cndmask_b32_e64 v42, v42, v35, s[2:3]
	v_add_co_u32_e32 v36, vcc, s22, v43
	v_addc_co_u32_e64 v33, s[12:13], v37, v33, s[12:13]
	v_addc_co_u32_e64 v35, s[12:13], v37, v54, s[14:15]
	v_ashrrev_i32_e32 v52, 31, v39
	v_add_co_u32_e64 v39, s[16:17], v16, v39
	v_cndmask_b32_e64 v40, v40, v47, s[2:3]
	global_load_sbyte v43, v[28:29], off
	global_load_sbyte v44, v[30:31], off
	v_add_co_u32_e64 v28, s[12:13], s22, v53
	v_addc_co_u32_e32 v37, vcc, v38, v41, vcc
	v_addc_co_u32_e64 v49, s[16:17], v17, v52, s[16:17]
	v_cndmask_b32_e64 v39, v39, v45, s[2:3]
	v_cndmask_b32_e64 v31, v50, v48, s[2:3]
	v_addc_co_u32_e64 v29, s[12:13], v38, v42, s[12:13]
	v_add_co_u32_e32 v30, vcc, s22, v40
	v_cndmask_b32_e64 v45, v49, v46, s[2:3]
	global_load_sbyte v40, v[32:33], off
	s_nop 0
	global_load_sbyte v34, v[34:35], off
	v_add_co_u32_e64 v32, s[12:13], s22, v39
	v_addc_co_u32_e32 v31, vcc, v38, v31, vcc
	v_addc_co_u32_e64 v33, s[12:13], v38, v45, s[12:13]
	global_load_sbyte v28, v[28:29], off
	s_nop 0
	global_load_sbyte v29, v[36:37], off
	s_nop 0
	;; [unrolled: 2-line block ×3, first 2 shown]
	global_load_sbyte v31, v[32:33], off
	v_add_u32_e32 v25, -4, v25
	v_cmp_eq_u32_e32 vcc, 0, v25
	v_add_u32_e32 v19, 0x80, v19
	v_add_u32_e32 v18, 0x80, v18
	s_or_b64 s[46:47], vcc, s[46:47]
	s_waitcnt vmcnt(3)
	v_mad_i32_i24 v24, v43, v28, v24
	s_waitcnt vmcnt(2)
	v_mad_i32_i24 v10, v44, v29, v10
	;; [unrolled: 2-line block ×4, first 2 shown]
	s_andn2_b64 exec, exec, s[46:47]
	s_cbranch_execnz .LBB38_23
; %bb.24:                               ;   in Loop: Header=BB38_19 Depth=2
	s_or_b64 exec, exec, s[46:47]
	v_add_u32_e32 v0, v27, v10
	v_add3_u32 v24, v26, v24, v0
	s_orn2_b64 s[12:13], s[8:9], exec
	v_mov_b32_e32 v10, v22
.LBB38_25:                              ;   in Loop: Header=BB38_19 Depth=2
	s_or_b64 exec, exec, s[44:45]
	s_andn2_b64 s[14:15], s[36:37], exec
	s_and_b64 s[12:13], s[12:13], exec
	s_or_b64 s[14:15], s[14:15], s[12:13]
.LBB38_26:                              ;   in Loop: Header=BB38_19 Depth=2
	s_or_b64 exec, exec, s[42:43]
	s_and_saveexec_b64 s[12:13], s[14:15]
	s_cbranch_execz .LBB38_17
; %bb.27:                               ;   in Loop: Header=BB38_19 Depth=2
	v_mul_lo_u32 v4, s48, v10
	s_mov_b64 s[14:15], 0
	v_pk_mov_b32 v[0:1], v[10:11], v[10:11] op_sel:[0,1]
	s_branch .LBB38_29
.LBB38_28:                              ;   in Loop: Header=BB38_29 Depth=3
	v_mov_b32_e32 v5, s23
	v_add_co_u32_e32 v2, vcc, s22, v2
	v_addc_co_u32_e32 v3, vcc, v5, v3, vcc
	global_load_sbyte v5, v[2:3], off
	v_add_u32_e32 v2, s39, v0
	v_ashrrev_i32_e32 v3, 31, v2
	v_mov_b32_e32 v10, s29
	v_add_co_u32_e32 v2, vcc, s28, v2
	v_addc_co_u32_e32 v3, vcc, v10, v3, vcc
	global_load_sbyte v2, v[2:3], off
	v_add_co_u32_e32 v0, vcc, 32, v0
	v_addc_co_u32_e32 v1, vcc, 0, v1, vcc
	v_cmp_le_i32_e32 vcc, s48, v0
	s_or_b64 s[14:15], vcc, s[14:15]
	v_add_u32_e32 v4, s57, v4
	s_waitcnt vmcnt(0)
	v_mad_i32_i24 v24, v2, v5, v24
	s_andn2_b64 exec, exec, s[14:15]
	s_cbranch_execz .LBB38_16
.LBB38_29:                              ;   Parent Loop BB38_14 Depth=1
                                        ;     Parent Loop BB38_19 Depth=2
                                        ; =>    This Inner Loop Header: Depth=3
	s_and_b64 vcc, exec, s[30:31]
	s_cbranch_vccz .LBB38_31
; %bb.30:                               ;   in Loop: Header=BB38_29 Depth=3
	v_ashrrev_i32_e32 v3, 31, v4
	v_add_co_u32_e32 v2, vcc, v16, v4
	v_addc_co_u32_e32 v3, vcc, v17, v3, vcc
	s_cbranch_execnz .LBB38_28
	s_branch .LBB38_32
.LBB38_31:                              ;   in Loop: Header=BB38_29 Depth=3
                                        ; implicit-def: $vgpr2_vgpr3
.LBB38_32:                              ;   in Loop: Header=BB38_29 Depth=3
	v_add_co_u32_e32 v2, vcc, v12, v0
	v_addc_co_u32_e32 v3, vcc, v13, v1, vcc
	s_branch .LBB38_28
.LBB38_33:                              ;   in Loop: Header=BB38_14 Depth=1
	s_nop 0
	v_mov_b32_dpp v0, v24 row_shr:1 row_mask:0xf bank_mask:0xf
	v_add_u32_e32 v0, v0, v24
	s_nop 1
	v_mov_b32_dpp v1, v0 row_shr:2 row_mask:0xf bank_mask:0xf
	v_add_u32_e32 v0, v0, v1
	;; [unrolled: 3-line block ×4, first 2 shown]
	s_nop 1
	v_mov_b32_dpp v1, v0 row_bcast:15 row_mask:0xa bank_mask:0xf
	s_and_saveexec_b64 s[12:13], s[4:5]
	s_cbranch_execz .LBB38_13
; %bb.34:                               ;   in Loop: Header=BB38_14 Depth=1
	v_add_u32_e32 v0, v0, v1
	v_add_u32_e32 v2, s53, v6
	s_andn2_b64 vcc, exec, s[34:35]
	v_mul_lo_u32 v0, v0, s25
	v_ashrrev_i32_e32 v3, 31, v2
	s_cbranch_vccnz .LBB38_36
; %bb.35:                               ;   in Loop: Header=BB38_14 Depth=1
	v_lshlrev_b64 v[4:5], 2, v[2:3]
	v_mov_b32_e32 v1, s27
	v_add_co_u32_e32 v4, vcc, s26, v4
	v_addc_co_u32_e32 v5, vcc, v1, v5, vcc
	global_load_dword v1, v[4:5], off
	s_waitcnt vmcnt(0)
	v_mad_u64_u32 v[12:13], s[14:15], v1, s33, v[0:1]
	global_store_dword v[4:5], v12, off
	s_cbranch_execnz .LBB38_13
	s_branch .LBB38_37
.LBB38_36:                              ;   in Loop: Header=BB38_14 Depth=1
.LBB38_37:                              ;   in Loop: Header=BB38_14 Depth=1
	v_lshlrev_b64 v[2:3], 2, v[2:3]
	v_mov_b32_e32 v1, s27
	v_add_co_u32_e32 v2, vcc, s26, v2
	v_addc_co_u32_e32 v3, vcc, v1, v3, vcc
	global_store_dword v[2:3], v0, off
	s_branch .LBB38_13
.LBB38_38:
	s_endpgm
	.section	.rodata,"a",@progbits
	.p2align	6, 0x0
	.amdhsa_kernel _ZN9rocsparseL22bsrxmvn_general_kernelILj1024ELj32EiiiaaiEEv20rocsparse_direction_NS_24const_host_device_scalarIT1_EET3_PKS5_PKT2_SA_S7_PKT4_S5_PKT5_S4_PT6_21rocsparse_index_base_b
		.amdhsa_group_segment_fixed_size 0
		.amdhsa_private_segment_fixed_size 0
		.amdhsa_kernarg_size 104
		.amdhsa_user_sgpr_count 6
		.amdhsa_user_sgpr_private_segment_buffer 1
		.amdhsa_user_sgpr_dispatch_ptr 0
		.amdhsa_user_sgpr_queue_ptr 0
		.amdhsa_user_sgpr_kernarg_segment_ptr 1
		.amdhsa_user_sgpr_dispatch_id 0
		.amdhsa_user_sgpr_flat_scratch_init 0
		.amdhsa_user_sgpr_kernarg_preload_length 0
		.amdhsa_user_sgpr_kernarg_preload_offset 0
		.amdhsa_user_sgpr_private_segment_size 0
		.amdhsa_uses_dynamic_stack 0
		.amdhsa_system_sgpr_private_segment_wavefront_offset 0
		.amdhsa_system_sgpr_workgroup_id_x 1
		.amdhsa_system_sgpr_workgroup_id_y 0
		.amdhsa_system_sgpr_workgroup_id_z 0
		.amdhsa_system_sgpr_workgroup_info 0
		.amdhsa_system_vgpr_workitem_id 0
		.amdhsa_next_free_vgpr 55
		.amdhsa_next_free_sgpr 59
		.amdhsa_accum_offset 56
		.amdhsa_reserve_vcc 1
		.amdhsa_reserve_flat_scratch 0
		.amdhsa_float_round_mode_32 0
		.amdhsa_float_round_mode_16_64 0
		.amdhsa_float_denorm_mode_32 3
		.amdhsa_float_denorm_mode_16_64 3
		.amdhsa_dx10_clamp 1
		.amdhsa_ieee_mode 1
		.amdhsa_fp16_overflow 0
		.amdhsa_tg_split 0
		.amdhsa_exception_fp_ieee_invalid_op 0
		.amdhsa_exception_fp_denorm_src 0
		.amdhsa_exception_fp_ieee_div_zero 0
		.amdhsa_exception_fp_ieee_overflow 0
		.amdhsa_exception_fp_ieee_underflow 0
		.amdhsa_exception_fp_ieee_inexact 0
		.amdhsa_exception_int_div_zero 0
	.end_amdhsa_kernel
	.section	.text._ZN9rocsparseL22bsrxmvn_general_kernelILj1024ELj32EiiiaaiEEv20rocsparse_direction_NS_24const_host_device_scalarIT1_EET3_PKS5_PKT2_SA_S7_PKT4_S5_PKT5_S4_PT6_21rocsparse_index_base_b,"axG",@progbits,_ZN9rocsparseL22bsrxmvn_general_kernelILj1024ELj32EiiiaaiEEv20rocsparse_direction_NS_24const_host_device_scalarIT1_EET3_PKS5_PKT2_SA_S7_PKT4_S5_PKT5_S4_PT6_21rocsparse_index_base_b,comdat
.Lfunc_end38:
	.size	_ZN9rocsparseL22bsrxmvn_general_kernelILj1024ELj32EiiiaaiEEv20rocsparse_direction_NS_24const_host_device_scalarIT1_EET3_PKS5_PKT2_SA_S7_PKT4_S5_PKT5_S4_PT6_21rocsparse_index_base_b, .Lfunc_end38-_ZN9rocsparseL22bsrxmvn_general_kernelILj1024ELj32EiiiaaiEEv20rocsparse_direction_NS_24const_host_device_scalarIT1_EET3_PKS5_PKT2_SA_S7_PKT4_S5_PKT5_S4_PT6_21rocsparse_index_base_b
                                        ; -- End function
	.section	.AMDGPU.csdata,"",@progbits
; Kernel info:
; codeLenInByte = 1832
; NumSgprs: 63
; NumVgprs: 55
; NumAgprs: 0
; TotalNumVgprs: 55
; ScratchSize: 0
; MemoryBound: 0
; FloatMode: 240
; IeeeMode: 1
; LDSByteSize: 0 bytes/workgroup (compile time only)
; SGPRBlocks: 7
; VGPRBlocks: 6
; NumSGPRsForWavesPerEU: 63
; NumVGPRsForWavesPerEU: 55
; AccumOffset: 56
; Occupancy: 8
; WaveLimiterHint : 1
; COMPUTE_PGM_RSRC2:SCRATCH_EN: 0
; COMPUTE_PGM_RSRC2:USER_SGPR: 6
; COMPUTE_PGM_RSRC2:TRAP_HANDLER: 0
; COMPUTE_PGM_RSRC2:TGID_X_EN: 1
; COMPUTE_PGM_RSRC2:TGID_Y_EN: 0
; COMPUTE_PGM_RSRC2:TGID_Z_EN: 0
; COMPUTE_PGM_RSRC2:TIDIG_COMP_CNT: 0
; COMPUTE_PGM_RSRC3_GFX90A:ACCUM_OFFSET: 13
; COMPUTE_PGM_RSRC3_GFX90A:TG_SPLIT: 0
	.section	.text._ZN9rocsparseL22bsrxmvn_general_kernelILj64ELj8EiliaaiEEv20rocsparse_direction_NS_24const_host_device_scalarIT1_EET3_PKS5_PKT2_SA_S7_PKT4_S5_PKT5_S4_PT6_21rocsparse_index_base_b,"axG",@progbits,_ZN9rocsparseL22bsrxmvn_general_kernelILj64ELj8EiliaaiEEv20rocsparse_direction_NS_24const_host_device_scalarIT1_EET3_PKS5_PKT2_SA_S7_PKT4_S5_PKT5_S4_PT6_21rocsparse_index_base_b,comdat
	.globl	_ZN9rocsparseL22bsrxmvn_general_kernelILj64ELj8EiliaaiEEv20rocsparse_direction_NS_24const_host_device_scalarIT1_EET3_PKS5_PKT2_SA_S7_PKT4_S5_PKT5_S4_PT6_21rocsparse_index_base_b ; -- Begin function _ZN9rocsparseL22bsrxmvn_general_kernelILj64ELj8EiliaaiEEv20rocsparse_direction_NS_24const_host_device_scalarIT1_EET3_PKS5_PKT2_SA_S7_PKT4_S5_PKT5_S4_PT6_21rocsparse_index_base_b
	.p2align	8
	.type	_ZN9rocsparseL22bsrxmvn_general_kernelILj64ELj8EiliaaiEEv20rocsparse_direction_NS_24const_host_device_scalarIT1_EET3_PKS5_PKT2_SA_S7_PKT4_S5_PKT5_S4_PT6_21rocsparse_index_base_b,@function
_ZN9rocsparseL22bsrxmvn_general_kernelILj64ELj8EiliaaiEEv20rocsparse_direction_NS_24const_host_device_scalarIT1_EET3_PKS5_PKT2_SA_S7_PKT4_S5_PKT5_S4_PT6_21rocsparse_index_base_b: ; @_ZN9rocsparseL22bsrxmvn_general_kernelILj64ELj8EiliaaiEEv20rocsparse_direction_NS_24const_host_device_scalarIT1_EET3_PKS5_PKT2_SA_S7_PKT4_S5_PKT5_S4_PT6_21rocsparse_index_base_b
; %bb.0:
	s_load_dwordx2 s[24:25], s[4:5], 0x60
	s_load_dwordx2 s[8:9], s[4:5], 0x8
	s_mov_b64 s[10:11], -1
	s_waitcnt lgkmcnt(0)
	s_bitcmp1_b32 s25, 0
	s_cselect_b64 s[0:1], -1, 0
	s_xor_b64 s[2:3], s[0:1], -1
	s_and_b64 vcc, exec, s[2:3]
                                        ; implicit-def: $sgpr25
	s_cbranch_vccnz .LBB39_4
; %bb.1:
	s_load_dwordx2 s[0:1], s[4:5], 0x50
	s_andn2_b64 vcc, exec, s[10:11]
	s_cbranch_vccz .LBB39_5
.LBB39_2:
	s_and_b64 vcc, exec, s[2:3]
	s_cbranch_vccz .LBB39_6
.LBB39_3:
	s_waitcnt lgkmcnt(0)
	s_load_dword s33, s[0:1], 0x0
	s_cbranch_execz .LBB39_7
	s_branch .LBB39_8
.LBB39_4:
	s_load_dword s25, s[8:9], 0x0
	s_load_dwordx2 s[0:1], s[4:5], 0x50
	s_cbranch_execnz .LBB39_2
.LBB39_5:
	s_waitcnt lgkmcnt(0)
	s_mov_b32 s25, s8
	s_and_b64 vcc, exec, s[2:3]
	s_cbranch_vccnz .LBB39_3
.LBB39_6:
                                        ; implicit-def: $sgpr33
.LBB39_7:
	s_waitcnt lgkmcnt(0)
	s_mov_b32 s33, s0
.LBB39_8:
	s_waitcnt lgkmcnt(0)
	s_cmp_lg_u32 s25, 0
	s_cselect_b64 s[0:1], -1, 0
	s_cmp_lg_u32 s33, 1
	s_cselect_b64 s[2:3], -1, 0
	s_or_b64 s[0:1], s[0:1], s[2:3]
	s_andn2_b64 vcc, exec, s[0:1]
	s_cbranch_vccnz .LBB39_38
; %bb.9:
	s_load_dwordx2 s[0:1], s[4:5], 0x18
	s_waitcnt lgkmcnt(0)
	s_cmp_eq_u64 s[0:1], 0
	s_cbranch_scc1 .LBB39_11
; %bb.10:
	s_ashr_i32 s7, s6, 31
	s_lshl_b64 s[2:3], s[6:7], 2
	s_add_u32 s0, s0, s2
	s_addc_u32 s1, s1, s3
	s_load_dword s0, s[0:1], 0x0
	s_waitcnt lgkmcnt(0)
	s_sub_i32 s6, s0, s24
.LBB39_11:
	s_load_dword s52, s[4:5], 0x40
	v_lshrrev_b32_e32 v6, 3, v0
	s_waitcnt lgkmcnt(0)
	v_cmp_gt_i32_e32 vcc, s52, v6
	s_and_saveexec_b64 s[0:1], vcc
	s_cbranch_execz .LBB39_38
; %bb.12:
	s_load_dwordx8 s[16:23], s[4:5], 0x20
	s_ashr_i32 s7, s6, 31
	s_lshl_b64 s[0:1], s[6:7], 3
	v_and_b32_e32 v8, 7, v0
	v_or_b32_e32 v9, 8, v8
	s_waitcnt lgkmcnt(0)
	s_add_u32 s2, s16, s0
	s_addc_u32 s3, s17, s1
	s_load_dwordx2 s[10:11], s[2:3], 0x0
	s_load_dwordx2 s[26:27], s[4:5], 0x58
	;; [unrolled: 1-line block ×3, first 2 shown]
	v_max_i32_e32 v2, s52, v9
	s_load_dword s4, s[4:5], 0x0
	s_waitcnt lgkmcnt(0)
	s_sub_u32 s30, s10, s24
	s_subb_u32 s31, s11, 0
	s_add_u32 s2, s2, 8
	s_addc_u32 s3, s3, 0
	s_add_u32 s0, s18, s0
	s_addc_u32 s1, s19, s1
	s_cmp_eq_u64 s[18:19], 0
	s_cselect_b32 s1, s3, s1
	s_cselect_b32 s0, s2, s0
	s_load_dwordx2 s[2:3], s[0:1], 0x0
	v_xad_u32 v2, v8, -1, v2
	s_mul_hi_u32 s53, s52, s52
	s_mul_i32 s54, s52, s52
	s_mul_i32 s55, s6, s52
	s_waitcnt lgkmcnt(0)
	s_sub_u32 s34, s2, s24
	s_subb_u32 s35, s3, 0
	s_cmp_lg_u32 s4, 0
	v_pk_mov_b32 v[0:1], s[2:3], s[2:3] op_sel:[0,1]
	s_cselect_b64 s[36:37], -1, 0
	s_cmp_lg_u32 s33, 0
	v_and_b32_e32 v20, -8, v2
	v_cmp_gt_u32_e64 s[40:41], 56, v2
	v_cmp_lt_u32_e64 s[6:7], 55, v2
	v_lshrrev_b32_e32 v2, 3, v2
	s_cselect_b64 s[38:39], -1, 0
	s_cmp_eq_u32 s4, 0
	v_add_u32_e32 v2, 1, v2
	s_mul_i32 s12, s30, s53
	s_mul_hi_u32 s13, s30, s54
	v_cmp_lt_i64_e32 vcc, s[10:11], v[0:1]
	s_cselect_b64 s[2:3], -1, 0
	v_and_b32_e32 v21, 0x3ffffffc, v2
	s_add_i32 s12, s13, s12
	s_mul_i32 s13, s31, s54
	v_cndmask_b32_e64 v0, 0, 1, vcc
	s_mov_b64 s[18:19], 0
	v_cmp_gt_u32_e64 s[0:1], s52, v8
	v_cmp_eq_u32_e64 s[4:5], 7, v8
	v_lshl_or_b32 v22, v21, 3, v8
	s_mov_b32 s56, s52
	v_cmp_ne_u32_e64 s[8:9], v2, v21
	s_add_i32 s57, s12, s13
	s_mul_i32 s58, s30, s54
	v_mul_lo_u32 v23, s52, v6
	s_lshl_b32 s59, s52, 3
	v_cmp_ne_u32_e64 s[10:11], 1, v0
	v_mov_b32_e32 v11, 0
	s_branch .LBB39_14
.LBB39_13:                              ;   in Loop: Header=BB39_14 Depth=1
	s_or_b64 exec, exec, s[12:13]
	v_add_u32_e32 v6, 8, v6
	v_cmp_le_i32_e32 vcc, s52, v6
	s_or_b64 s[18:19], vcc, s[18:19]
	v_add_u32_e32 v23, s59, v23
	s_andn2_b64 exec, exec, s[18:19]
	s_cbranch_execz .LBB39_38
.LBB39_14:                              ; =>This Loop Header: Depth=1
                                        ;     Child Loop BB39_19 Depth 2
                                        ;       Child Loop BB39_23 Depth 3
                                        ;       Child Loop BB39_29 Depth 3
	s_and_b64 vcc, exec, s[10:11]
	v_mov_b32_e32 v24, v11
	s_cbranch_vccnz .LBB39_33
; %bb.15:                               ;   in Loop: Header=BB39_14 Depth=1
	v_ashrrev_i32_e32 v0, 31, v23
	v_mov_b32_e32 v1, s57
	v_add_co_u32_e32 v12, vcc, s58, v23
	v_mul_lo_u32 v14, v6, s52
	v_addc_co_u32_e32 v13, vcc, v1, v0, vcc
	v_ashrrev_i32_e32 v7, 31, v6
	v_ashrrev_i32_e32 v15, 31, v14
	v_mov_b32_e32 v24, 0
	s_mov_b64 s[42:43], s[30:31]
	s_branch .LBB39_19
.LBB39_16:                              ;   in Loop: Header=BB39_19 Depth=2
	s_or_b64 exec, exec, s[14:15]
.LBB39_17:                              ;   in Loop: Header=BB39_19 Depth=2
	s_or_b64 exec, exec, s[12:13]
.LBB39_18:                              ;   in Loop: Header=BB39_19 Depth=2
	s_or_b64 exec, exec, s[44:45]
	s_add_u32 s42, s42, 1
	v_mov_b32_e32 v0, s53
	v_add_co_u32_e32 v12, vcc, s54, v12
	s_addc_u32 s43, s43, 0
	v_addc_co_u32_e32 v13, vcc, v13, v0, vcc
	v_pk_mov_b32 v[0:1], s[34:35], s[34:35] op_sel:[0,1]
	v_cmp_ge_i64_e32 vcc, s[42:43], v[0:1]
	s_cbranch_vccnz .LBB39_33
.LBB39_19:                              ;   Parent Loop BB39_14 Depth=1
                                        ; =>  This Loop Header: Depth=2
                                        ;       Child Loop BB39_23 Depth 3
                                        ;       Child Loop BB39_29 Depth 3
	s_and_saveexec_b64 s[44:45], s[0:1]
	s_cbranch_execz .LBB39_18
; %bb.20:                               ;   in Loop: Header=BB39_19 Depth=2
	s_lshl_b64 s[12:13], s[42:43], 2
	s_add_u32 s12, s20, s12
	s_addc_u32 s13, s21, s13
	s_load_dword s12, s[12:13], 0x0
	s_mul_i32 s13, s53, s42
	s_mul_i32 s16, s54, s43
	v_mov_b32_e32 v0, s42
	s_add_i32 s16, s16, s13
	s_waitcnt lgkmcnt(0)
	s_sub_i32 s14, s12, s24
	v_mad_u64_u32 v[16:17], s[12:13], s54, v0, v[6:7]
	v_add_u32_e32 v17, s16, v17
	s_mul_i32 s60, s14, s52
	s_mov_b64 s[14:15], s[40:41]
	v_mov_b32_e32 v10, v8
	s_and_saveexec_b64 s[46:47], s[6:7]
	s_cbranch_execz .LBB39_26
; %bb.21:                               ;   in Loop: Header=BB39_19 Depth=2
	v_add_u32_e32 v0, s60, v8
	v_add_u32_e32 v1, v0, v20
	v_cmp_ge_i32_e32 vcc, v1, v0
	s_mov_b64 s[12:13], -1
	v_mov_b32_e32 v10, v8
	s_and_saveexec_b64 s[48:49], vcc
	s_cbranch_execz .LBB39_25
; %bb.22:                               ;   in Loop: Header=BB39_19 Depth=2
	s_mul_hi_u32 s12, s54, s42
	s_add_i32 s12, s16, s12
	s_mul_i32 s13, s54, s42
	v_mov_b32_e32 v1, s12
	v_add_co_u32_e32 v0, vcc, s13, v14
	v_addc_co_u32_e32 v1, vcc, v1, v15, vcc
	v_mov_b32_e32 v2, v16
	v_mov_b32_e32 v3, v17
	;; [unrolled: 1-line block ×4, first 2 shown]
	s_mov_b32 s61, s60
	s_mov_b64 s[50:51], 0
	v_mov_b32_e32 v10, 0
	v_mov_b32_e32 v25, v21
	v_pk_mov_b32 v[18:19], v[8:9], v[8:9] op_sel:[0,1]
	v_mov_b32_e32 v26, 0
	v_mov_b32_e32 v27, 0
.LBB39_23:                              ;   Parent Loop BB39_14 Depth=1
                                        ;     Parent Loop BB39_19 Depth=2
                                        ; =>    This Inner Loop Header: Depth=3
	v_mov_b32_e32 v28, v19
	v_add_co_u32_e64 v43, s[12:13], v4, v28
	v_add_u32_e32 v30, 16, v18
	v_addc_co_u32_e64 v44, s[12:13], 0, v5, s[12:13]
	v_add_co_u32_e64 v45, s[12:13], v0, v30
	v_add_u32_e32 v29, 16, v19
	v_add_co_u32_e32 v33, vcc, v0, v18
	v_addc_co_u32_e64 v46, s[12:13], 0, v1, s[12:13]
	v_mul_lo_u32 v32, v19, s56
	v_addc_co_u32_e32 v35, vcc, 0, v1, vcc
	v_add_co_u32_e64 v47, s[12:13], v4, v29
	v_mul_lo_u32 v31, v18, s52
	v_add_u32_e32 v34, s60, v18
	v_add_u32_e32 v36, s61, v19
	v_ashrrev_i32_e32 v41, 31, v32
	v_add_co_u32_e32 v32, vcc, v2, v32
	v_addc_co_u32_e64 v48, s[12:13], 0, v5, s[12:13]
	v_mov_b32_e32 v37, s29
	v_mul_lo_u32 v39, v30, s52
	v_mul_lo_u32 v40, v29, s56
	v_ashrrev_i32_e32 v42, 31, v31
	v_add_u32_e32 v49, s60, v30
	v_add_u32_e32 v50, s61, v29
	v_ashrrev_i32_e32 v51, 31, v36
	v_ashrrev_i32_e32 v29, 31, v34
	v_add_co_u32_e64 v28, s[12:13], s28, v34
	v_add_co_u32_e64 v30, s[14:15], s28, v36
	;; [unrolled: 1-line block ×3, first 2 shown]
	v_addc_co_u32_e32 v41, vcc, v3, v41, vcc
	v_ashrrev_i32_e32 v36, 31, v40
	v_add_co_u32_e32 v40, vcc, v2, v40
	v_cndmask_b32_e64 v53, v31, v33, s[2:3]
	v_addc_co_u32_e64 v29, s[12:13], v37, v29, s[12:13]
	v_addc_co_u32_e64 v31, s[12:13], v37, v51, s[14:15]
	;; [unrolled: 1-line block ×3, first 2 shown]
	v_cndmask_b32_e64 v43, v32, v43, s[2:3]
	v_ashrrev_i32_e32 v54, 31, v50
	v_ashrrev_i32_e32 v33, 31, v49
	v_add_co_u32_e64 v32, s[12:13], s28, v49
	v_add_co_u32_e64 v34, s[14:15], s28, v50
	v_addc_co_u32_e32 v50, vcc, v3, v36, vcc
	v_mov_b32_e32 v38, s23
	v_cndmask_b32_e64 v41, v41, v44, s[2:3]
	v_cndmask_b32_e64 v42, v42, v35, s[2:3]
	v_add_co_u32_e32 v36, vcc, s22, v43
	v_addc_co_u32_e64 v33, s[12:13], v37, v33, s[12:13]
	v_addc_co_u32_e64 v35, s[12:13], v37, v54, s[14:15]
	v_ashrrev_i32_e32 v52, 31, v39
	v_add_co_u32_e64 v39, s[16:17], v16, v39
	v_cndmask_b32_e64 v40, v40, v47, s[2:3]
	global_load_sbyte v43, v[28:29], off
	global_load_sbyte v44, v[30:31], off
	v_add_co_u32_e64 v28, s[12:13], s22, v53
	v_addc_co_u32_e32 v37, vcc, v38, v41, vcc
	v_addc_co_u32_e64 v49, s[16:17], v17, v52, s[16:17]
	v_cndmask_b32_e64 v39, v39, v45, s[2:3]
	v_cndmask_b32_e64 v31, v50, v48, s[2:3]
	v_addc_co_u32_e64 v29, s[12:13], v38, v42, s[12:13]
	v_add_co_u32_e32 v30, vcc, s22, v40
	v_cndmask_b32_e64 v45, v49, v46, s[2:3]
	global_load_sbyte v40, v[32:33], off
	s_nop 0
	global_load_sbyte v34, v[34:35], off
	v_add_co_u32_e64 v32, s[12:13], s22, v39
	v_addc_co_u32_e32 v31, vcc, v38, v31, vcc
	v_addc_co_u32_e64 v33, s[12:13], v38, v45, s[12:13]
	global_load_sbyte v28, v[28:29], off
	s_nop 0
	global_load_sbyte v29, v[36:37], off
	s_nop 0
	;; [unrolled: 2-line block ×3, first 2 shown]
	global_load_sbyte v31, v[32:33], off
	v_add_u32_e32 v25, -4, v25
	v_cmp_eq_u32_e32 vcc, 0, v25
	v_add_u32_e32 v19, 32, v19
	v_add_u32_e32 v18, 32, v18
	s_or_b64 s[50:51], vcc, s[50:51]
	s_waitcnt vmcnt(3)
	v_mad_i32_i24 v24, v43, v28, v24
	s_waitcnt vmcnt(2)
	v_mad_i32_i24 v10, v44, v29, v10
	;; [unrolled: 2-line block ×4, first 2 shown]
	s_andn2_b64 exec, exec, s[50:51]
	s_cbranch_execnz .LBB39_23
; %bb.24:                               ;   in Loop: Header=BB39_19 Depth=2
	s_or_b64 exec, exec, s[50:51]
	v_add_u32_e32 v0, v27, v10
	v_add3_u32 v24, v26, v24, v0
	s_orn2_b64 s[12:13], s[8:9], exec
	v_mov_b32_e32 v10, v22
.LBB39_25:                              ;   in Loop: Header=BB39_19 Depth=2
	s_or_b64 exec, exec, s[48:49]
	s_andn2_b64 s[14:15], s[40:41], exec
	s_and_b64 s[12:13], s[12:13], exec
	s_or_b64 s[14:15], s[14:15], s[12:13]
.LBB39_26:                              ;   in Loop: Header=BB39_19 Depth=2
	s_or_b64 exec, exec, s[46:47]
	s_and_saveexec_b64 s[12:13], s[14:15]
	s_cbranch_execz .LBB39_17
; %bb.27:                               ;   in Loop: Header=BB39_19 Depth=2
	v_mul_lo_u32 v4, s52, v10
	s_mov_b64 s[14:15], 0
	v_pk_mov_b32 v[0:1], v[10:11], v[10:11] op_sel:[0,1]
	s_branch .LBB39_29
.LBB39_28:                              ;   in Loop: Header=BB39_29 Depth=3
	v_mov_b32_e32 v5, s23
	v_add_co_u32_e32 v2, vcc, s22, v2
	v_addc_co_u32_e32 v3, vcc, v5, v3, vcc
	global_load_sbyte v5, v[2:3], off
	v_add_u32_e32 v2, s60, v0
	v_ashrrev_i32_e32 v3, 31, v2
	v_mov_b32_e32 v10, s29
	v_add_co_u32_e32 v2, vcc, s28, v2
	v_addc_co_u32_e32 v3, vcc, v10, v3, vcc
	global_load_sbyte v2, v[2:3], off
	v_add_co_u32_e32 v0, vcc, 8, v0
	v_addc_co_u32_e32 v1, vcc, 0, v1, vcc
	v_cmp_le_i32_e32 vcc, s52, v0
	s_or_b64 s[14:15], vcc, s[14:15]
	v_add_u32_e32 v4, s59, v4
	s_waitcnt vmcnt(0)
	v_mad_i32_i24 v24, v2, v5, v24
	s_andn2_b64 exec, exec, s[14:15]
	s_cbranch_execz .LBB39_16
.LBB39_29:                              ;   Parent Loop BB39_14 Depth=1
                                        ;     Parent Loop BB39_19 Depth=2
                                        ; =>    This Inner Loop Header: Depth=3
	s_and_b64 vcc, exec, s[36:37]
	s_cbranch_vccz .LBB39_31
; %bb.30:                               ;   in Loop: Header=BB39_29 Depth=3
	v_ashrrev_i32_e32 v3, 31, v4
	v_add_co_u32_e32 v2, vcc, v16, v4
	v_addc_co_u32_e32 v3, vcc, v17, v3, vcc
	s_cbranch_execnz .LBB39_28
	s_branch .LBB39_32
.LBB39_31:                              ;   in Loop: Header=BB39_29 Depth=3
                                        ; implicit-def: $vgpr2_vgpr3
.LBB39_32:                              ;   in Loop: Header=BB39_29 Depth=3
	v_add_co_u32_e32 v2, vcc, v12, v0
	v_addc_co_u32_e32 v3, vcc, v13, v1, vcc
	s_branch .LBB39_28
.LBB39_33:                              ;   in Loop: Header=BB39_14 Depth=1
	s_nop 0
	v_mov_b32_dpp v0, v24 row_shr:1 row_mask:0xf bank_mask:0xf
	v_add_u32_e32 v0, v0, v24
	s_nop 1
	v_mov_b32_dpp v1, v0 row_shr:2 row_mask:0xf bank_mask:0xf
	v_add_u32_e32 v0, v0, v1
	s_nop 1
	v_mov_b32_dpp v1, v0 row_shr:4 row_mask:0xf bank_mask:0xe
	s_and_saveexec_b64 s[12:13], s[4:5]
	s_cbranch_execz .LBB39_13
; %bb.34:                               ;   in Loop: Header=BB39_14 Depth=1
	v_add_u32_e32 v0, v0, v1
	v_add_u32_e32 v2, s55, v6
	s_andn2_b64 vcc, exec, s[38:39]
	v_mul_lo_u32 v0, v0, s25
	v_ashrrev_i32_e32 v3, 31, v2
	s_cbranch_vccnz .LBB39_36
; %bb.35:                               ;   in Loop: Header=BB39_14 Depth=1
	v_lshlrev_b64 v[4:5], 2, v[2:3]
	v_mov_b32_e32 v1, s27
	v_add_co_u32_e32 v4, vcc, s26, v4
	v_addc_co_u32_e32 v5, vcc, v1, v5, vcc
	global_load_dword v1, v[4:5], off
	s_waitcnt vmcnt(0)
	v_mad_u64_u32 v[12:13], s[14:15], v1, s33, v[0:1]
	global_store_dword v[4:5], v12, off
	s_cbranch_execnz .LBB39_13
	s_branch .LBB39_37
.LBB39_36:                              ;   in Loop: Header=BB39_14 Depth=1
.LBB39_37:                              ;   in Loop: Header=BB39_14 Depth=1
	v_lshlrev_b64 v[2:3], 2, v[2:3]
	v_mov_b32_e32 v1, s27
	v_add_co_u32_e32 v2, vcc, s26, v2
	v_addc_co_u32_e32 v3, vcc, v1, v3, vcc
	global_store_dword v[2:3], v0, off
	s_branch .LBB39_13
.LBB39_38:
	s_endpgm
	.section	.rodata,"a",@progbits
	.p2align	6, 0x0
	.amdhsa_kernel _ZN9rocsparseL22bsrxmvn_general_kernelILj64ELj8EiliaaiEEv20rocsparse_direction_NS_24const_host_device_scalarIT1_EET3_PKS5_PKT2_SA_S7_PKT4_S5_PKT5_S4_PT6_21rocsparse_index_base_b
		.amdhsa_group_segment_fixed_size 0
		.amdhsa_private_segment_fixed_size 0
		.amdhsa_kernarg_size 104
		.amdhsa_user_sgpr_count 6
		.amdhsa_user_sgpr_private_segment_buffer 1
		.amdhsa_user_sgpr_dispatch_ptr 0
		.amdhsa_user_sgpr_queue_ptr 0
		.amdhsa_user_sgpr_kernarg_segment_ptr 1
		.amdhsa_user_sgpr_dispatch_id 0
		.amdhsa_user_sgpr_flat_scratch_init 0
		.amdhsa_user_sgpr_kernarg_preload_length 0
		.amdhsa_user_sgpr_kernarg_preload_offset 0
		.amdhsa_user_sgpr_private_segment_size 0
		.amdhsa_uses_dynamic_stack 0
		.amdhsa_system_sgpr_private_segment_wavefront_offset 0
		.amdhsa_system_sgpr_workgroup_id_x 1
		.amdhsa_system_sgpr_workgroup_id_y 0
		.amdhsa_system_sgpr_workgroup_id_z 0
		.amdhsa_system_sgpr_workgroup_info 0
		.amdhsa_system_vgpr_workitem_id 0
		.amdhsa_next_free_vgpr 55
		.amdhsa_next_free_sgpr 62
		.amdhsa_accum_offset 56
		.amdhsa_reserve_vcc 1
		.amdhsa_reserve_flat_scratch 0
		.amdhsa_float_round_mode_32 0
		.amdhsa_float_round_mode_16_64 0
		.amdhsa_float_denorm_mode_32 3
		.amdhsa_float_denorm_mode_16_64 3
		.amdhsa_dx10_clamp 1
		.amdhsa_ieee_mode 1
		.amdhsa_fp16_overflow 0
		.amdhsa_tg_split 0
		.amdhsa_exception_fp_ieee_invalid_op 0
		.amdhsa_exception_fp_denorm_src 0
		.amdhsa_exception_fp_ieee_div_zero 0
		.amdhsa_exception_fp_ieee_overflow 0
		.amdhsa_exception_fp_ieee_underflow 0
		.amdhsa_exception_fp_ieee_inexact 0
		.amdhsa_exception_int_div_zero 0
	.end_amdhsa_kernel
	.section	.text._ZN9rocsparseL22bsrxmvn_general_kernelILj64ELj8EiliaaiEEv20rocsparse_direction_NS_24const_host_device_scalarIT1_EET3_PKS5_PKT2_SA_S7_PKT4_S5_PKT5_S4_PT6_21rocsparse_index_base_b,"axG",@progbits,_ZN9rocsparseL22bsrxmvn_general_kernelILj64ELj8EiliaaiEEv20rocsparse_direction_NS_24const_host_device_scalarIT1_EET3_PKS5_PKT2_SA_S7_PKT4_S5_PKT5_S4_PT6_21rocsparse_index_base_b,comdat
.Lfunc_end39:
	.size	_ZN9rocsparseL22bsrxmvn_general_kernelILj64ELj8EiliaaiEEv20rocsparse_direction_NS_24const_host_device_scalarIT1_EET3_PKS5_PKT2_SA_S7_PKT4_S5_PKT5_S4_PT6_21rocsparse_index_base_b, .Lfunc_end39-_ZN9rocsparseL22bsrxmvn_general_kernelILj64ELj8EiliaaiEEv20rocsparse_direction_NS_24const_host_device_scalarIT1_EET3_PKS5_PKT2_SA_S7_PKT4_S5_PKT5_S4_PT6_21rocsparse_index_base_b
                                        ; -- End function
	.section	.AMDGPU.csdata,"",@progbits
; Kernel info:
; codeLenInByte = 1796
; NumSgprs: 66
; NumVgprs: 55
; NumAgprs: 0
; TotalNumVgprs: 55
; ScratchSize: 0
; MemoryBound: 0
; FloatMode: 240
; IeeeMode: 1
; LDSByteSize: 0 bytes/workgroup (compile time only)
; SGPRBlocks: 8
; VGPRBlocks: 6
; NumSGPRsForWavesPerEU: 66
; NumVGPRsForWavesPerEU: 55
; AccumOffset: 56
; Occupancy: 8
; WaveLimiterHint : 1
; COMPUTE_PGM_RSRC2:SCRATCH_EN: 0
; COMPUTE_PGM_RSRC2:USER_SGPR: 6
; COMPUTE_PGM_RSRC2:TRAP_HANDLER: 0
; COMPUTE_PGM_RSRC2:TGID_X_EN: 1
; COMPUTE_PGM_RSRC2:TGID_Y_EN: 0
; COMPUTE_PGM_RSRC2:TGID_Z_EN: 0
; COMPUTE_PGM_RSRC2:TIDIG_COMP_CNT: 0
; COMPUTE_PGM_RSRC3_GFX90A:ACCUM_OFFSET: 13
; COMPUTE_PGM_RSRC3_GFX90A:TG_SPLIT: 0
	.section	.text._ZN9rocsparseL22bsrxmvn_general_kernelILj256ELj16EiliaaiEEv20rocsparse_direction_NS_24const_host_device_scalarIT1_EET3_PKS5_PKT2_SA_S7_PKT4_S5_PKT5_S4_PT6_21rocsparse_index_base_b,"axG",@progbits,_ZN9rocsparseL22bsrxmvn_general_kernelILj256ELj16EiliaaiEEv20rocsparse_direction_NS_24const_host_device_scalarIT1_EET3_PKS5_PKT2_SA_S7_PKT4_S5_PKT5_S4_PT6_21rocsparse_index_base_b,comdat
	.globl	_ZN9rocsparseL22bsrxmvn_general_kernelILj256ELj16EiliaaiEEv20rocsparse_direction_NS_24const_host_device_scalarIT1_EET3_PKS5_PKT2_SA_S7_PKT4_S5_PKT5_S4_PT6_21rocsparse_index_base_b ; -- Begin function _ZN9rocsparseL22bsrxmvn_general_kernelILj256ELj16EiliaaiEEv20rocsparse_direction_NS_24const_host_device_scalarIT1_EET3_PKS5_PKT2_SA_S7_PKT4_S5_PKT5_S4_PT6_21rocsparse_index_base_b
	.p2align	8
	.type	_ZN9rocsparseL22bsrxmvn_general_kernelILj256ELj16EiliaaiEEv20rocsparse_direction_NS_24const_host_device_scalarIT1_EET3_PKS5_PKT2_SA_S7_PKT4_S5_PKT5_S4_PT6_21rocsparse_index_base_b,@function
_ZN9rocsparseL22bsrxmvn_general_kernelILj256ELj16EiliaaiEEv20rocsparse_direction_NS_24const_host_device_scalarIT1_EET3_PKS5_PKT2_SA_S7_PKT4_S5_PKT5_S4_PT6_21rocsparse_index_base_b: ; @_ZN9rocsparseL22bsrxmvn_general_kernelILj256ELj16EiliaaiEEv20rocsparse_direction_NS_24const_host_device_scalarIT1_EET3_PKS5_PKT2_SA_S7_PKT4_S5_PKT5_S4_PT6_21rocsparse_index_base_b
; %bb.0:
	s_load_dwordx2 s[24:25], s[4:5], 0x60
	s_load_dwordx2 s[8:9], s[4:5], 0x8
	s_mov_b64 s[10:11], -1
	s_waitcnt lgkmcnt(0)
	s_bitcmp1_b32 s25, 0
	s_cselect_b64 s[0:1], -1, 0
	s_xor_b64 s[2:3], s[0:1], -1
	s_and_b64 vcc, exec, s[2:3]
                                        ; implicit-def: $sgpr25
	s_cbranch_vccnz .LBB40_4
; %bb.1:
	s_load_dwordx2 s[0:1], s[4:5], 0x50
	s_andn2_b64 vcc, exec, s[10:11]
	s_cbranch_vccz .LBB40_5
.LBB40_2:
	s_and_b64 vcc, exec, s[2:3]
	s_cbranch_vccz .LBB40_6
.LBB40_3:
	s_waitcnt lgkmcnt(0)
	s_load_dword s33, s[0:1], 0x0
	s_cbranch_execz .LBB40_7
	s_branch .LBB40_8
.LBB40_4:
	s_load_dword s25, s[8:9], 0x0
	s_load_dwordx2 s[0:1], s[4:5], 0x50
	s_cbranch_execnz .LBB40_2
.LBB40_5:
	s_waitcnt lgkmcnt(0)
	s_mov_b32 s25, s8
	s_and_b64 vcc, exec, s[2:3]
	s_cbranch_vccnz .LBB40_3
.LBB40_6:
                                        ; implicit-def: $sgpr33
.LBB40_7:
	s_waitcnt lgkmcnt(0)
	s_mov_b32 s33, s0
.LBB40_8:
	s_waitcnt lgkmcnt(0)
	s_cmp_lg_u32 s25, 0
	s_cselect_b64 s[0:1], -1, 0
	s_cmp_lg_u32 s33, 1
	s_cselect_b64 s[2:3], -1, 0
	s_or_b64 s[0:1], s[0:1], s[2:3]
	s_andn2_b64 vcc, exec, s[0:1]
	s_cbranch_vccnz .LBB40_38
; %bb.9:
	s_load_dwordx2 s[0:1], s[4:5], 0x18
	s_waitcnt lgkmcnt(0)
	s_cmp_eq_u64 s[0:1], 0
	s_cbranch_scc1 .LBB40_11
; %bb.10:
	s_ashr_i32 s7, s6, 31
	s_lshl_b64 s[2:3], s[6:7], 2
	s_add_u32 s0, s0, s2
	s_addc_u32 s1, s1, s3
	s_load_dword s0, s[0:1], 0x0
	s_waitcnt lgkmcnt(0)
	s_sub_i32 s6, s0, s24
.LBB40_11:
	s_load_dword s52, s[4:5], 0x40
	v_lshrrev_b32_e32 v6, 4, v0
	s_waitcnt lgkmcnt(0)
	v_cmp_gt_i32_e32 vcc, s52, v6
	s_and_saveexec_b64 s[0:1], vcc
	s_cbranch_execz .LBB40_38
; %bb.12:
	s_load_dwordx8 s[16:23], s[4:5], 0x20
	s_ashr_i32 s7, s6, 31
	s_lshl_b64 s[0:1], s[6:7], 3
	v_and_b32_e32 v8, 15, v0
	v_or_b32_e32 v9, 16, v8
	s_waitcnt lgkmcnt(0)
	s_add_u32 s2, s16, s0
	s_addc_u32 s3, s17, s1
	s_load_dwordx2 s[10:11], s[2:3], 0x0
	s_load_dwordx2 s[26:27], s[4:5], 0x58
	;; [unrolled: 1-line block ×3, first 2 shown]
	v_max_i32_e32 v2, s52, v9
	s_load_dword s4, s[4:5], 0x0
	s_waitcnt lgkmcnt(0)
	s_sub_u32 s30, s10, s24
	s_subb_u32 s31, s11, 0
	s_add_u32 s2, s2, 8
	s_addc_u32 s3, s3, 0
	s_add_u32 s0, s18, s0
	s_addc_u32 s1, s19, s1
	s_cmp_eq_u64 s[18:19], 0
	s_cselect_b32 s1, s3, s1
	s_cselect_b32 s0, s2, s0
	s_load_dwordx2 s[2:3], s[0:1], 0x0
	s_mul_i32 s55, s6, s52
	v_xad_u32 v2, v8, -1, v2
	s_movk_i32 s6, 0x70
	v_cmp_gt_u32_e64 s[40:41], s6, v2
	s_waitcnt lgkmcnt(0)
	s_sub_u32 s34, s2, s24
	s_subb_u32 s35, s3, 0
	s_cmp_lg_u32 s4, 0
	s_movk_i32 s6, 0x6f
	v_pk_mov_b32 v[0:1], s[2:3], s[2:3] op_sel:[0,1]
	s_cselect_b64 s[36:37], -1, 0
	s_cmp_lg_u32 s33, 0
	s_mul_hi_u32 s53, s52, s52
	s_mul_i32 s54, s52, s52
	v_and_b32_e32 v20, -16, v2
	v_cmp_lt_u32_e64 s[6:7], s6, v2
	v_lshrrev_b32_e32 v2, 4, v2
	s_cselect_b64 s[38:39], -1, 0
	s_cmp_eq_u32 s4, 0
	v_add_u32_e32 v2, 1, v2
	s_mul_i32 s12, s30, s53
	s_mul_hi_u32 s13, s30, s54
	v_cmp_lt_i64_e32 vcc, s[10:11], v[0:1]
	s_cselect_b64 s[2:3], -1, 0
	v_and_b32_e32 v21, 0x1ffffffc, v2
	s_add_i32 s12, s13, s12
	s_mul_i32 s13, s31, s54
	v_cndmask_b32_e64 v0, 0, 1, vcc
	s_mov_b64 s[18:19], 0
	v_cmp_gt_u32_e64 s[0:1], s52, v8
	v_cmp_eq_u32_e64 s[4:5], 15, v8
	v_lshl_or_b32 v22, v21, 4, v8
	s_mov_b32 s56, s52
	v_cmp_ne_u32_e64 s[8:9], v2, v21
	s_add_i32 s57, s12, s13
	s_mul_i32 s58, s30, s54
	v_mul_lo_u32 v23, s52, v6
	s_lshl_b32 s59, s52, 4
	v_cmp_ne_u32_e64 s[10:11], 1, v0
	v_mov_b32_e32 v11, 0
	s_branch .LBB40_14
.LBB40_13:                              ;   in Loop: Header=BB40_14 Depth=1
	s_or_b64 exec, exec, s[12:13]
	v_add_u32_e32 v6, 16, v6
	v_cmp_le_i32_e32 vcc, s52, v6
	s_or_b64 s[18:19], vcc, s[18:19]
	v_add_u32_e32 v23, s59, v23
	s_andn2_b64 exec, exec, s[18:19]
	s_cbranch_execz .LBB40_38
.LBB40_14:                              ; =>This Loop Header: Depth=1
                                        ;     Child Loop BB40_19 Depth 2
                                        ;       Child Loop BB40_23 Depth 3
                                        ;       Child Loop BB40_29 Depth 3
	s_and_b64 vcc, exec, s[10:11]
	v_mov_b32_e32 v24, v11
	s_cbranch_vccnz .LBB40_33
; %bb.15:                               ;   in Loop: Header=BB40_14 Depth=1
	v_ashrrev_i32_e32 v0, 31, v23
	v_mov_b32_e32 v1, s57
	v_add_co_u32_e32 v12, vcc, s58, v23
	v_mul_lo_u32 v14, v6, s52
	v_addc_co_u32_e32 v13, vcc, v1, v0, vcc
	v_ashrrev_i32_e32 v7, 31, v6
	v_ashrrev_i32_e32 v15, 31, v14
	v_mov_b32_e32 v24, 0
	s_mov_b64 s[42:43], s[30:31]
	s_branch .LBB40_19
.LBB40_16:                              ;   in Loop: Header=BB40_19 Depth=2
	s_or_b64 exec, exec, s[14:15]
.LBB40_17:                              ;   in Loop: Header=BB40_19 Depth=2
	s_or_b64 exec, exec, s[12:13]
.LBB40_18:                              ;   in Loop: Header=BB40_19 Depth=2
	s_or_b64 exec, exec, s[44:45]
	s_add_u32 s42, s42, 1
	v_mov_b32_e32 v0, s53
	v_add_co_u32_e32 v12, vcc, s54, v12
	s_addc_u32 s43, s43, 0
	v_addc_co_u32_e32 v13, vcc, v13, v0, vcc
	v_pk_mov_b32 v[0:1], s[34:35], s[34:35] op_sel:[0,1]
	v_cmp_ge_i64_e32 vcc, s[42:43], v[0:1]
	s_cbranch_vccnz .LBB40_33
.LBB40_19:                              ;   Parent Loop BB40_14 Depth=1
                                        ; =>  This Loop Header: Depth=2
                                        ;       Child Loop BB40_23 Depth 3
                                        ;       Child Loop BB40_29 Depth 3
	s_and_saveexec_b64 s[44:45], s[0:1]
	s_cbranch_execz .LBB40_18
; %bb.20:                               ;   in Loop: Header=BB40_19 Depth=2
	s_lshl_b64 s[12:13], s[42:43], 2
	s_add_u32 s12, s20, s12
	s_addc_u32 s13, s21, s13
	s_load_dword s12, s[12:13], 0x0
	s_mul_i32 s13, s53, s42
	s_mul_i32 s16, s54, s43
	v_mov_b32_e32 v0, s42
	s_add_i32 s16, s16, s13
	s_waitcnt lgkmcnt(0)
	s_sub_i32 s14, s12, s24
	v_mad_u64_u32 v[16:17], s[12:13], s54, v0, v[6:7]
	v_add_u32_e32 v17, s16, v17
	s_mul_i32 s60, s14, s52
	s_mov_b64 s[14:15], s[40:41]
	v_mov_b32_e32 v10, v8
	s_and_saveexec_b64 s[46:47], s[6:7]
	s_cbranch_execz .LBB40_26
; %bb.21:                               ;   in Loop: Header=BB40_19 Depth=2
	v_add_u32_e32 v0, s60, v8
	v_add_u32_e32 v1, v0, v20
	v_cmp_ge_i32_e32 vcc, v1, v0
	s_mov_b64 s[12:13], -1
	v_mov_b32_e32 v10, v8
	s_and_saveexec_b64 s[48:49], vcc
	s_cbranch_execz .LBB40_25
; %bb.22:                               ;   in Loop: Header=BB40_19 Depth=2
	s_mul_hi_u32 s12, s54, s42
	s_add_i32 s12, s16, s12
	s_mul_i32 s13, s54, s42
	v_mov_b32_e32 v1, s12
	v_add_co_u32_e32 v0, vcc, s13, v14
	v_addc_co_u32_e32 v1, vcc, v1, v15, vcc
	v_mov_b32_e32 v2, v16
	v_mov_b32_e32 v3, v17
	;; [unrolled: 1-line block ×4, first 2 shown]
	s_mov_b32 s61, s60
	s_mov_b64 s[50:51], 0
	v_mov_b32_e32 v10, 0
	v_mov_b32_e32 v25, v21
	v_pk_mov_b32 v[18:19], v[8:9], v[8:9] op_sel:[0,1]
	v_mov_b32_e32 v26, 0
	v_mov_b32_e32 v27, 0
.LBB40_23:                              ;   Parent Loop BB40_14 Depth=1
                                        ;     Parent Loop BB40_19 Depth=2
                                        ; =>    This Inner Loop Header: Depth=3
	v_mov_b32_e32 v28, v19
	v_add_co_u32_e64 v43, s[12:13], v4, v28
	v_add_u32_e32 v30, 32, v18
	v_addc_co_u32_e64 v44, s[12:13], 0, v5, s[12:13]
	v_add_co_u32_e64 v45, s[12:13], v0, v30
	v_add_u32_e32 v29, 32, v19
	v_add_co_u32_e32 v33, vcc, v0, v18
	v_addc_co_u32_e64 v46, s[12:13], 0, v1, s[12:13]
	v_mul_lo_u32 v32, v19, s56
	v_addc_co_u32_e32 v35, vcc, 0, v1, vcc
	v_add_co_u32_e64 v47, s[12:13], v4, v29
	v_mul_lo_u32 v31, v18, s52
	v_add_u32_e32 v34, s60, v18
	v_add_u32_e32 v36, s61, v19
	v_ashrrev_i32_e32 v41, 31, v32
	v_add_co_u32_e32 v32, vcc, v2, v32
	v_addc_co_u32_e64 v48, s[12:13], 0, v5, s[12:13]
	v_mov_b32_e32 v37, s29
	v_mul_lo_u32 v39, v30, s52
	v_mul_lo_u32 v40, v29, s56
	v_ashrrev_i32_e32 v42, 31, v31
	v_add_u32_e32 v49, s60, v30
	v_add_u32_e32 v50, s61, v29
	v_ashrrev_i32_e32 v51, 31, v36
	v_ashrrev_i32_e32 v29, 31, v34
	v_add_co_u32_e64 v28, s[12:13], s28, v34
	v_add_co_u32_e64 v30, s[14:15], s28, v36
	;; [unrolled: 1-line block ×3, first 2 shown]
	v_addc_co_u32_e32 v41, vcc, v3, v41, vcc
	v_ashrrev_i32_e32 v36, 31, v40
	v_add_co_u32_e32 v40, vcc, v2, v40
	v_cndmask_b32_e64 v53, v31, v33, s[2:3]
	v_addc_co_u32_e64 v29, s[12:13], v37, v29, s[12:13]
	v_addc_co_u32_e64 v31, s[12:13], v37, v51, s[14:15]
	;; [unrolled: 1-line block ×3, first 2 shown]
	v_cndmask_b32_e64 v43, v32, v43, s[2:3]
	v_ashrrev_i32_e32 v54, 31, v50
	v_ashrrev_i32_e32 v33, 31, v49
	v_add_co_u32_e64 v32, s[12:13], s28, v49
	v_add_co_u32_e64 v34, s[14:15], s28, v50
	v_addc_co_u32_e32 v50, vcc, v3, v36, vcc
	v_mov_b32_e32 v38, s23
	v_cndmask_b32_e64 v41, v41, v44, s[2:3]
	v_cndmask_b32_e64 v42, v42, v35, s[2:3]
	v_add_co_u32_e32 v36, vcc, s22, v43
	v_addc_co_u32_e64 v33, s[12:13], v37, v33, s[12:13]
	v_addc_co_u32_e64 v35, s[12:13], v37, v54, s[14:15]
	v_ashrrev_i32_e32 v52, 31, v39
	v_add_co_u32_e64 v39, s[16:17], v16, v39
	v_cndmask_b32_e64 v40, v40, v47, s[2:3]
	global_load_sbyte v43, v[28:29], off
	global_load_sbyte v44, v[30:31], off
	v_add_co_u32_e64 v28, s[12:13], s22, v53
	v_addc_co_u32_e32 v37, vcc, v38, v41, vcc
	v_addc_co_u32_e64 v49, s[16:17], v17, v52, s[16:17]
	v_cndmask_b32_e64 v39, v39, v45, s[2:3]
	v_cndmask_b32_e64 v31, v50, v48, s[2:3]
	v_addc_co_u32_e64 v29, s[12:13], v38, v42, s[12:13]
	v_add_co_u32_e32 v30, vcc, s22, v40
	v_cndmask_b32_e64 v45, v49, v46, s[2:3]
	global_load_sbyte v40, v[32:33], off
	s_nop 0
	global_load_sbyte v34, v[34:35], off
	v_add_co_u32_e64 v32, s[12:13], s22, v39
	v_addc_co_u32_e32 v31, vcc, v38, v31, vcc
	v_addc_co_u32_e64 v33, s[12:13], v38, v45, s[12:13]
	global_load_sbyte v28, v[28:29], off
	s_nop 0
	global_load_sbyte v29, v[36:37], off
	s_nop 0
	;; [unrolled: 2-line block ×3, first 2 shown]
	global_load_sbyte v31, v[32:33], off
	v_add_u32_e32 v25, -4, v25
	v_cmp_eq_u32_e32 vcc, 0, v25
	v_add_u32_e32 v19, 64, v19
	v_add_u32_e32 v18, 64, v18
	s_or_b64 s[50:51], vcc, s[50:51]
	s_waitcnt vmcnt(3)
	v_mad_i32_i24 v24, v43, v28, v24
	s_waitcnt vmcnt(2)
	v_mad_i32_i24 v10, v44, v29, v10
	;; [unrolled: 2-line block ×4, first 2 shown]
	s_andn2_b64 exec, exec, s[50:51]
	s_cbranch_execnz .LBB40_23
; %bb.24:                               ;   in Loop: Header=BB40_19 Depth=2
	s_or_b64 exec, exec, s[50:51]
	v_add_u32_e32 v0, v27, v10
	v_add3_u32 v24, v26, v24, v0
	s_orn2_b64 s[12:13], s[8:9], exec
	v_mov_b32_e32 v10, v22
.LBB40_25:                              ;   in Loop: Header=BB40_19 Depth=2
	s_or_b64 exec, exec, s[48:49]
	s_andn2_b64 s[14:15], s[40:41], exec
	s_and_b64 s[12:13], s[12:13], exec
	s_or_b64 s[14:15], s[14:15], s[12:13]
.LBB40_26:                              ;   in Loop: Header=BB40_19 Depth=2
	s_or_b64 exec, exec, s[46:47]
	s_and_saveexec_b64 s[12:13], s[14:15]
	s_cbranch_execz .LBB40_17
; %bb.27:                               ;   in Loop: Header=BB40_19 Depth=2
	v_mul_lo_u32 v4, s52, v10
	s_mov_b64 s[14:15], 0
	v_pk_mov_b32 v[0:1], v[10:11], v[10:11] op_sel:[0,1]
	s_branch .LBB40_29
.LBB40_28:                              ;   in Loop: Header=BB40_29 Depth=3
	v_mov_b32_e32 v5, s23
	v_add_co_u32_e32 v2, vcc, s22, v2
	v_addc_co_u32_e32 v3, vcc, v5, v3, vcc
	global_load_sbyte v5, v[2:3], off
	v_add_u32_e32 v2, s60, v0
	v_ashrrev_i32_e32 v3, 31, v2
	v_mov_b32_e32 v10, s29
	v_add_co_u32_e32 v2, vcc, s28, v2
	v_addc_co_u32_e32 v3, vcc, v10, v3, vcc
	global_load_sbyte v2, v[2:3], off
	v_add_co_u32_e32 v0, vcc, 16, v0
	v_addc_co_u32_e32 v1, vcc, 0, v1, vcc
	v_cmp_le_i32_e32 vcc, s52, v0
	s_or_b64 s[14:15], vcc, s[14:15]
	v_add_u32_e32 v4, s59, v4
	s_waitcnt vmcnt(0)
	v_mad_i32_i24 v24, v2, v5, v24
	s_andn2_b64 exec, exec, s[14:15]
	s_cbranch_execz .LBB40_16
.LBB40_29:                              ;   Parent Loop BB40_14 Depth=1
                                        ;     Parent Loop BB40_19 Depth=2
                                        ; =>    This Inner Loop Header: Depth=3
	s_and_b64 vcc, exec, s[36:37]
	s_cbranch_vccz .LBB40_31
; %bb.30:                               ;   in Loop: Header=BB40_29 Depth=3
	v_ashrrev_i32_e32 v3, 31, v4
	v_add_co_u32_e32 v2, vcc, v16, v4
	v_addc_co_u32_e32 v3, vcc, v17, v3, vcc
	s_cbranch_execnz .LBB40_28
	s_branch .LBB40_32
.LBB40_31:                              ;   in Loop: Header=BB40_29 Depth=3
                                        ; implicit-def: $vgpr2_vgpr3
.LBB40_32:                              ;   in Loop: Header=BB40_29 Depth=3
	v_add_co_u32_e32 v2, vcc, v12, v0
	v_addc_co_u32_e32 v3, vcc, v13, v1, vcc
	s_branch .LBB40_28
.LBB40_33:                              ;   in Loop: Header=BB40_14 Depth=1
	s_nop 0
	v_mov_b32_dpp v0, v24 row_shr:1 row_mask:0xf bank_mask:0xf
	v_add_u32_e32 v0, v0, v24
	s_nop 1
	v_mov_b32_dpp v1, v0 row_shr:2 row_mask:0xf bank_mask:0xf
	v_add_u32_e32 v0, v0, v1
	s_nop 1
	v_mov_b32_dpp v1, v0 row_shr:4 row_mask:0xf bank_mask:0xe
	v_add_u32_e32 v0, v0, v1
	s_nop 1
	v_mov_b32_dpp v1, v0 row_shr:8 row_mask:0xf bank_mask:0xc
	s_and_saveexec_b64 s[12:13], s[4:5]
	s_cbranch_execz .LBB40_13
; %bb.34:                               ;   in Loop: Header=BB40_14 Depth=1
	v_add_u32_e32 v0, v0, v1
	v_add_u32_e32 v2, s55, v6
	s_andn2_b64 vcc, exec, s[38:39]
	v_mul_lo_u32 v0, v0, s25
	v_ashrrev_i32_e32 v3, 31, v2
	s_cbranch_vccnz .LBB40_36
; %bb.35:                               ;   in Loop: Header=BB40_14 Depth=1
	v_lshlrev_b64 v[4:5], 2, v[2:3]
	v_mov_b32_e32 v1, s27
	v_add_co_u32_e32 v4, vcc, s26, v4
	v_addc_co_u32_e32 v5, vcc, v1, v5, vcc
	global_load_dword v1, v[4:5], off
	s_waitcnt vmcnt(0)
	v_mad_u64_u32 v[12:13], s[14:15], v1, s33, v[0:1]
	global_store_dword v[4:5], v12, off
	s_cbranch_execnz .LBB40_13
	s_branch .LBB40_37
.LBB40_36:                              ;   in Loop: Header=BB40_14 Depth=1
.LBB40_37:                              ;   in Loop: Header=BB40_14 Depth=1
	v_lshlrev_b64 v[2:3], 2, v[2:3]
	v_mov_b32_e32 v1, s27
	v_add_co_u32_e32 v2, vcc, s26, v2
	v_addc_co_u32_e32 v3, vcc, v1, v3, vcc
	global_store_dword v[2:3], v0, off
	s_branch .LBB40_13
.LBB40_38:
	s_endpgm
	.section	.rodata,"a",@progbits
	.p2align	6, 0x0
	.amdhsa_kernel _ZN9rocsparseL22bsrxmvn_general_kernelILj256ELj16EiliaaiEEv20rocsparse_direction_NS_24const_host_device_scalarIT1_EET3_PKS5_PKT2_SA_S7_PKT4_S5_PKT5_S4_PT6_21rocsparse_index_base_b
		.amdhsa_group_segment_fixed_size 0
		.amdhsa_private_segment_fixed_size 0
		.amdhsa_kernarg_size 104
		.amdhsa_user_sgpr_count 6
		.amdhsa_user_sgpr_private_segment_buffer 1
		.amdhsa_user_sgpr_dispatch_ptr 0
		.amdhsa_user_sgpr_queue_ptr 0
		.amdhsa_user_sgpr_kernarg_segment_ptr 1
		.amdhsa_user_sgpr_dispatch_id 0
		.amdhsa_user_sgpr_flat_scratch_init 0
		.amdhsa_user_sgpr_kernarg_preload_length 0
		.amdhsa_user_sgpr_kernarg_preload_offset 0
		.amdhsa_user_sgpr_private_segment_size 0
		.amdhsa_uses_dynamic_stack 0
		.amdhsa_system_sgpr_private_segment_wavefront_offset 0
		.amdhsa_system_sgpr_workgroup_id_x 1
		.amdhsa_system_sgpr_workgroup_id_y 0
		.amdhsa_system_sgpr_workgroup_id_z 0
		.amdhsa_system_sgpr_workgroup_info 0
		.amdhsa_system_vgpr_workitem_id 0
		.amdhsa_next_free_vgpr 55
		.amdhsa_next_free_sgpr 62
		.amdhsa_accum_offset 56
		.amdhsa_reserve_vcc 1
		.amdhsa_reserve_flat_scratch 0
		.amdhsa_float_round_mode_32 0
		.amdhsa_float_round_mode_16_64 0
		.amdhsa_float_denorm_mode_32 3
		.amdhsa_float_denorm_mode_16_64 3
		.amdhsa_dx10_clamp 1
		.amdhsa_ieee_mode 1
		.amdhsa_fp16_overflow 0
		.amdhsa_tg_split 0
		.amdhsa_exception_fp_ieee_invalid_op 0
		.amdhsa_exception_fp_denorm_src 0
		.amdhsa_exception_fp_ieee_div_zero 0
		.amdhsa_exception_fp_ieee_overflow 0
		.amdhsa_exception_fp_ieee_underflow 0
		.amdhsa_exception_fp_ieee_inexact 0
		.amdhsa_exception_int_div_zero 0
	.end_amdhsa_kernel
	.section	.text._ZN9rocsparseL22bsrxmvn_general_kernelILj256ELj16EiliaaiEEv20rocsparse_direction_NS_24const_host_device_scalarIT1_EET3_PKS5_PKT2_SA_S7_PKT4_S5_PKT5_S4_PT6_21rocsparse_index_base_b,"axG",@progbits,_ZN9rocsparseL22bsrxmvn_general_kernelILj256ELj16EiliaaiEEv20rocsparse_direction_NS_24const_host_device_scalarIT1_EET3_PKS5_PKT2_SA_S7_PKT4_S5_PKT5_S4_PT6_21rocsparse_index_base_b,comdat
.Lfunc_end40:
	.size	_ZN9rocsparseL22bsrxmvn_general_kernelILj256ELj16EiliaaiEEv20rocsparse_direction_NS_24const_host_device_scalarIT1_EET3_PKS5_PKT2_SA_S7_PKT4_S5_PKT5_S4_PT6_21rocsparse_index_base_b, .Lfunc_end40-_ZN9rocsparseL22bsrxmvn_general_kernelILj256ELj16EiliaaiEEv20rocsparse_direction_NS_24const_host_device_scalarIT1_EET3_PKS5_PKT2_SA_S7_PKT4_S5_PKT5_S4_PT6_21rocsparse_index_base_b
                                        ; -- End function
	.section	.AMDGPU.csdata,"",@progbits
; Kernel info:
; codeLenInByte = 1820
; NumSgprs: 66
; NumVgprs: 55
; NumAgprs: 0
; TotalNumVgprs: 55
; ScratchSize: 0
; MemoryBound: 0
; FloatMode: 240
; IeeeMode: 1
; LDSByteSize: 0 bytes/workgroup (compile time only)
; SGPRBlocks: 8
; VGPRBlocks: 6
; NumSGPRsForWavesPerEU: 66
; NumVGPRsForWavesPerEU: 55
; AccumOffset: 56
; Occupancy: 8
; WaveLimiterHint : 1
; COMPUTE_PGM_RSRC2:SCRATCH_EN: 0
; COMPUTE_PGM_RSRC2:USER_SGPR: 6
; COMPUTE_PGM_RSRC2:TRAP_HANDLER: 0
; COMPUTE_PGM_RSRC2:TGID_X_EN: 1
; COMPUTE_PGM_RSRC2:TGID_Y_EN: 0
; COMPUTE_PGM_RSRC2:TGID_Z_EN: 0
; COMPUTE_PGM_RSRC2:TIDIG_COMP_CNT: 0
; COMPUTE_PGM_RSRC3_GFX90A:ACCUM_OFFSET: 13
; COMPUTE_PGM_RSRC3_GFX90A:TG_SPLIT: 0
	.section	.text._ZN9rocsparseL22bsrxmvn_general_kernelILj1024ELj32EiliaaiEEv20rocsparse_direction_NS_24const_host_device_scalarIT1_EET3_PKS5_PKT2_SA_S7_PKT4_S5_PKT5_S4_PT6_21rocsparse_index_base_b,"axG",@progbits,_ZN9rocsparseL22bsrxmvn_general_kernelILj1024ELj32EiliaaiEEv20rocsparse_direction_NS_24const_host_device_scalarIT1_EET3_PKS5_PKT2_SA_S7_PKT4_S5_PKT5_S4_PT6_21rocsparse_index_base_b,comdat
	.globl	_ZN9rocsparseL22bsrxmvn_general_kernelILj1024ELj32EiliaaiEEv20rocsparse_direction_NS_24const_host_device_scalarIT1_EET3_PKS5_PKT2_SA_S7_PKT4_S5_PKT5_S4_PT6_21rocsparse_index_base_b ; -- Begin function _ZN9rocsparseL22bsrxmvn_general_kernelILj1024ELj32EiliaaiEEv20rocsparse_direction_NS_24const_host_device_scalarIT1_EET3_PKS5_PKT2_SA_S7_PKT4_S5_PKT5_S4_PT6_21rocsparse_index_base_b
	.p2align	8
	.type	_ZN9rocsparseL22bsrxmvn_general_kernelILj1024ELj32EiliaaiEEv20rocsparse_direction_NS_24const_host_device_scalarIT1_EET3_PKS5_PKT2_SA_S7_PKT4_S5_PKT5_S4_PT6_21rocsparse_index_base_b,@function
_ZN9rocsparseL22bsrxmvn_general_kernelILj1024ELj32EiliaaiEEv20rocsparse_direction_NS_24const_host_device_scalarIT1_EET3_PKS5_PKT2_SA_S7_PKT4_S5_PKT5_S4_PT6_21rocsparse_index_base_b: ; @_ZN9rocsparseL22bsrxmvn_general_kernelILj1024ELj32EiliaaiEEv20rocsparse_direction_NS_24const_host_device_scalarIT1_EET3_PKS5_PKT2_SA_S7_PKT4_S5_PKT5_S4_PT6_21rocsparse_index_base_b
; %bb.0:
	s_load_dwordx2 s[24:25], s[4:5], 0x60
	s_load_dwordx2 s[8:9], s[4:5], 0x8
	s_mov_b64 s[10:11], -1
	s_waitcnt lgkmcnt(0)
	s_bitcmp1_b32 s25, 0
	s_cselect_b64 s[0:1], -1, 0
	s_xor_b64 s[2:3], s[0:1], -1
	s_and_b64 vcc, exec, s[2:3]
                                        ; implicit-def: $sgpr25
	s_cbranch_vccnz .LBB41_4
; %bb.1:
	s_load_dwordx2 s[0:1], s[4:5], 0x50
	s_andn2_b64 vcc, exec, s[10:11]
	s_cbranch_vccz .LBB41_5
.LBB41_2:
	s_and_b64 vcc, exec, s[2:3]
	s_cbranch_vccz .LBB41_6
.LBB41_3:
	s_waitcnt lgkmcnt(0)
	s_load_dword s33, s[0:1], 0x0
	s_cbranch_execz .LBB41_7
	s_branch .LBB41_8
.LBB41_4:
	s_load_dword s25, s[8:9], 0x0
	s_load_dwordx2 s[0:1], s[4:5], 0x50
	s_cbranch_execnz .LBB41_2
.LBB41_5:
	s_waitcnt lgkmcnt(0)
	s_mov_b32 s25, s8
	s_and_b64 vcc, exec, s[2:3]
	s_cbranch_vccnz .LBB41_3
.LBB41_6:
                                        ; implicit-def: $sgpr33
.LBB41_7:
	s_waitcnt lgkmcnt(0)
	s_mov_b32 s33, s0
.LBB41_8:
	s_waitcnt lgkmcnt(0)
	s_cmp_lg_u32 s25, 0
	s_cselect_b64 s[0:1], -1, 0
	s_cmp_lg_u32 s33, 1
	s_cselect_b64 s[2:3], -1, 0
	s_or_b64 s[0:1], s[0:1], s[2:3]
	s_andn2_b64 vcc, exec, s[0:1]
	s_cbranch_vccnz .LBB41_38
; %bb.9:
	s_load_dwordx2 s[0:1], s[4:5], 0x18
	s_waitcnt lgkmcnt(0)
	s_cmp_eq_u64 s[0:1], 0
	s_cbranch_scc1 .LBB41_11
; %bb.10:
	s_ashr_i32 s7, s6, 31
	s_lshl_b64 s[2:3], s[6:7], 2
	s_add_u32 s0, s0, s2
	s_addc_u32 s1, s1, s3
	s_load_dword s0, s[0:1], 0x0
	s_waitcnt lgkmcnt(0)
	s_sub_i32 s6, s0, s24
.LBB41_11:
	s_load_dword s52, s[4:5], 0x40
	v_lshrrev_b32_e32 v6, 5, v0
	s_waitcnt lgkmcnt(0)
	v_cmp_gt_i32_e32 vcc, s52, v6
	s_and_saveexec_b64 s[0:1], vcc
	s_cbranch_execz .LBB41_38
; %bb.12:
	s_load_dwordx8 s[16:23], s[4:5], 0x20
	s_ashr_i32 s7, s6, 31
	s_lshl_b64 s[0:1], s[6:7], 3
	v_and_b32_e32 v8, 31, v0
	v_or_b32_e32 v9, 32, v8
	s_waitcnt lgkmcnt(0)
	s_add_u32 s2, s16, s0
	s_addc_u32 s3, s17, s1
	s_load_dwordx2 s[10:11], s[2:3], 0x0
	s_load_dwordx2 s[26:27], s[4:5], 0x58
	;; [unrolled: 1-line block ×3, first 2 shown]
	v_max_i32_e32 v2, s52, v9
	s_load_dword s4, s[4:5], 0x0
	s_waitcnt lgkmcnt(0)
	s_sub_u32 s30, s10, s24
	s_subb_u32 s31, s11, 0
	s_add_u32 s2, s2, 8
	s_addc_u32 s3, s3, 0
	s_add_u32 s0, s18, s0
	s_addc_u32 s1, s19, s1
	s_cmp_eq_u64 s[18:19], 0
	s_cselect_b32 s1, s3, s1
	s_cselect_b32 s0, s2, s0
	s_load_dwordx2 s[2:3], s[0:1], 0x0
	s_mul_i32 s55, s6, s52
	v_xad_u32 v2, v8, -1, v2
	s_movk_i32 s6, 0xe0
	v_cmp_gt_u32_e64 s[40:41], s6, v2
	s_waitcnt lgkmcnt(0)
	s_sub_u32 s34, s2, s24
	s_subb_u32 s35, s3, 0
	s_cmp_lg_u32 s4, 0
	s_movk_i32 s6, 0xdf
	v_pk_mov_b32 v[0:1], s[2:3], s[2:3] op_sel:[0,1]
	s_cselect_b64 s[36:37], -1, 0
	s_cmp_lg_u32 s33, 0
	s_mul_hi_u32 s53, s52, s52
	s_mul_i32 s54, s52, s52
	v_and_b32_e32 v20, 0xffffffe0, v2
	v_cmp_lt_u32_e64 s[6:7], s6, v2
	v_lshrrev_b32_e32 v2, 5, v2
	s_cselect_b64 s[38:39], -1, 0
	s_cmp_eq_u32 s4, 0
	v_add_u32_e32 v2, 1, v2
	s_mul_i32 s12, s30, s53
	s_mul_hi_u32 s13, s30, s54
	v_cmp_lt_i64_e32 vcc, s[10:11], v[0:1]
	s_cselect_b64 s[2:3], -1, 0
	v_and_b32_e32 v21, 0xffffffc, v2
	s_add_i32 s12, s13, s12
	s_mul_i32 s13, s31, s54
	v_cndmask_b32_e64 v0, 0, 1, vcc
	s_mov_b64 s[18:19], 0
	v_cmp_gt_u32_e64 s[0:1], s52, v8
	v_cmp_eq_u32_e64 s[4:5], 31, v8
	v_lshl_or_b32 v22, v21, 5, v8
	s_mov_b32 s56, s52
	v_cmp_ne_u32_e64 s[8:9], v2, v21
	s_add_i32 s57, s12, s13
	s_mul_i32 s58, s30, s54
	v_mul_lo_u32 v23, s52, v6
	s_lshl_b32 s59, s52, 5
	v_mov_b32_e32 v11, 0
	v_cmp_ne_u32_e64 s[10:11], 1, v0
	s_branch .LBB41_14
.LBB41_13:                              ;   in Loop: Header=BB41_14 Depth=1
	s_or_b64 exec, exec, s[12:13]
	v_add_u32_e32 v6, 32, v6
	v_cmp_le_i32_e32 vcc, s52, v6
	s_or_b64 s[18:19], vcc, s[18:19]
	v_add_u32_e32 v23, s59, v23
	s_andn2_b64 exec, exec, s[18:19]
	s_cbranch_execz .LBB41_38
.LBB41_14:                              ; =>This Loop Header: Depth=1
                                        ;     Child Loop BB41_19 Depth 2
                                        ;       Child Loop BB41_23 Depth 3
                                        ;       Child Loop BB41_29 Depth 3
	s_and_b64 vcc, exec, s[10:11]
	v_mov_b32_e32 v24, v11
	s_cbranch_vccnz .LBB41_33
; %bb.15:                               ;   in Loop: Header=BB41_14 Depth=1
	v_ashrrev_i32_e32 v0, 31, v23
	v_mov_b32_e32 v1, s57
	v_add_co_u32_e32 v12, vcc, s58, v23
	v_mul_lo_u32 v14, v6, s52
	v_addc_co_u32_e32 v13, vcc, v1, v0, vcc
	v_mov_b32_e32 v7, v11
	v_ashrrev_i32_e32 v15, 31, v14
	v_mov_b32_e32 v24, 0
	s_mov_b64 s[42:43], s[30:31]
	s_branch .LBB41_19
.LBB41_16:                              ;   in Loop: Header=BB41_19 Depth=2
	s_or_b64 exec, exec, s[14:15]
.LBB41_17:                              ;   in Loop: Header=BB41_19 Depth=2
	s_or_b64 exec, exec, s[12:13]
.LBB41_18:                              ;   in Loop: Header=BB41_19 Depth=2
	s_or_b64 exec, exec, s[44:45]
	s_add_u32 s42, s42, 1
	v_mov_b32_e32 v0, s53
	v_add_co_u32_e32 v12, vcc, s54, v12
	s_addc_u32 s43, s43, 0
	v_addc_co_u32_e32 v13, vcc, v13, v0, vcc
	v_pk_mov_b32 v[0:1], s[34:35], s[34:35] op_sel:[0,1]
	v_cmp_ge_i64_e32 vcc, s[42:43], v[0:1]
	s_cbranch_vccnz .LBB41_33
.LBB41_19:                              ;   Parent Loop BB41_14 Depth=1
                                        ; =>  This Loop Header: Depth=2
                                        ;       Child Loop BB41_23 Depth 3
                                        ;       Child Loop BB41_29 Depth 3
	s_and_saveexec_b64 s[44:45], s[0:1]
	s_cbranch_execz .LBB41_18
; %bb.20:                               ;   in Loop: Header=BB41_19 Depth=2
	s_lshl_b64 s[12:13], s[42:43], 2
	s_add_u32 s12, s20, s12
	s_addc_u32 s13, s21, s13
	s_load_dword s12, s[12:13], 0x0
	s_mul_i32 s13, s53, s42
	s_mul_i32 s16, s54, s43
	v_mov_b32_e32 v0, s42
	s_add_i32 s16, s16, s13
	s_waitcnt lgkmcnt(0)
	s_sub_i32 s14, s12, s24
	v_mad_u64_u32 v[16:17], s[12:13], s54, v0, v[6:7]
	v_add_u32_e32 v17, s16, v17
	s_mul_i32 s60, s14, s52
	s_mov_b64 s[14:15], s[40:41]
	v_mov_b32_e32 v10, v8
	s_and_saveexec_b64 s[46:47], s[6:7]
	s_cbranch_execz .LBB41_26
; %bb.21:                               ;   in Loop: Header=BB41_19 Depth=2
	v_add_u32_e32 v0, s60, v8
	v_add_u32_e32 v1, v0, v20
	v_cmp_ge_i32_e32 vcc, v1, v0
	s_mov_b64 s[12:13], -1
	v_mov_b32_e32 v10, v8
	s_and_saveexec_b64 s[48:49], vcc
	s_cbranch_execz .LBB41_25
; %bb.22:                               ;   in Loop: Header=BB41_19 Depth=2
	s_mul_hi_u32 s12, s54, s42
	s_add_i32 s12, s16, s12
	s_mul_i32 s13, s54, s42
	v_mov_b32_e32 v1, s12
	v_add_co_u32_e32 v0, vcc, s13, v14
	v_addc_co_u32_e32 v1, vcc, v1, v15, vcc
	v_mov_b32_e32 v2, v16
	v_mov_b32_e32 v3, v17
	;; [unrolled: 1-line block ×4, first 2 shown]
	s_mov_b32 s61, s60
	s_mov_b64 s[50:51], 0
	v_mov_b32_e32 v10, 0
	v_mov_b32_e32 v25, v21
	v_pk_mov_b32 v[18:19], v[8:9], v[8:9] op_sel:[0,1]
	v_mov_b32_e32 v26, 0
	v_mov_b32_e32 v27, 0
.LBB41_23:                              ;   Parent Loop BB41_14 Depth=1
                                        ;     Parent Loop BB41_19 Depth=2
                                        ; =>    This Inner Loop Header: Depth=3
	v_mov_b32_e32 v28, v19
	v_add_co_u32_e64 v43, s[12:13], v4, v28
	v_add_u32_e32 v30, 64, v18
	v_addc_co_u32_e64 v44, s[12:13], 0, v5, s[12:13]
	v_add_co_u32_e64 v45, s[12:13], v0, v30
	v_add_u32_e32 v29, 64, v19
	v_add_co_u32_e32 v33, vcc, v0, v18
	v_addc_co_u32_e64 v46, s[12:13], 0, v1, s[12:13]
	v_mul_lo_u32 v32, v19, s56
	v_addc_co_u32_e32 v35, vcc, 0, v1, vcc
	v_add_co_u32_e64 v47, s[12:13], v4, v29
	v_mul_lo_u32 v31, v18, s52
	v_add_u32_e32 v34, s60, v18
	v_add_u32_e32 v36, s61, v19
	v_ashrrev_i32_e32 v41, 31, v32
	v_add_co_u32_e32 v32, vcc, v2, v32
	v_addc_co_u32_e64 v48, s[12:13], 0, v5, s[12:13]
	v_mov_b32_e32 v37, s29
	v_mul_lo_u32 v39, v30, s52
	v_mul_lo_u32 v40, v29, s56
	v_ashrrev_i32_e32 v42, 31, v31
	v_add_u32_e32 v49, s60, v30
	v_add_u32_e32 v50, s61, v29
	v_ashrrev_i32_e32 v51, 31, v36
	v_ashrrev_i32_e32 v29, 31, v34
	v_add_co_u32_e64 v28, s[12:13], s28, v34
	v_add_co_u32_e64 v30, s[14:15], s28, v36
	;; [unrolled: 1-line block ×3, first 2 shown]
	v_addc_co_u32_e32 v41, vcc, v3, v41, vcc
	v_ashrrev_i32_e32 v36, 31, v40
	v_add_co_u32_e32 v40, vcc, v2, v40
	v_cndmask_b32_e64 v53, v31, v33, s[2:3]
	v_addc_co_u32_e64 v29, s[12:13], v37, v29, s[12:13]
	v_addc_co_u32_e64 v31, s[12:13], v37, v51, s[14:15]
	;; [unrolled: 1-line block ×3, first 2 shown]
	v_cndmask_b32_e64 v43, v32, v43, s[2:3]
	v_ashrrev_i32_e32 v54, 31, v50
	v_ashrrev_i32_e32 v33, 31, v49
	v_add_co_u32_e64 v32, s[12:13], s28, v49
	v_add_co_u32_e64 v34, s[14:15], s28, v50
	v_addc_co_u32_e32 v50, vcc, v3, v36, vcc
	v_mov_b32_e32 v38, s23
	v_cndmask_b32_e64 v41, v41, v44, s[2:3]
	v_cndmask_b32_e64 v42, v42, v35, s[2:3]
	v_add_co_u32_e32 v36, vcc, s22, v43
	v_addc_co_u32_e64 v33, s[12:13], v37, v33, s[12:13]
	v_addc_co_u32_e64 v35, s[12:13], v37, v54, s[14:15]
	v_ashrrev_i32_e32 v52, 31, v39
	v_add_co_u32_e64 v39, s[16:17], v16, v39
	v_cndmask_b32_e64 v40, v40, v47, s[2:3]
	global_load_sbyte v43, v[28:29], off
	global_load_sbyte v44, v[30:31], off
	v_add_co_u32_e64 v28, s[12:13], s22, v53
	v_addc_co_u32_e32 v37, vcc, v38, v41, vcc
	v_addc_co_u32_e64 v49, s[16:17], v17, v52, s[16:17]
	v_cndmask_b32_e64 v39, v39, v45, s[2:3]
	v_cndmask_b32_e64 v31, v50, v48, s[2:3]
	v_addc_co_u32_e64 v29, s[12:13], v38, v42, s[12:13]
	v_add_co_u32_e32 v30, vcc, s22, v40
	v_cndmask_b32_e64 v45, v49, v46, s[2:3]
	global_load_sbyte v40, v[32:33], off
	s_nop 0
	global_load_sbyte v34, v[34:35], off
	v_add_co_u32_e64 v32, s[12:13], s22, v39
	v_addc_co_u32_e32 v31, vcc, v38, v31, vcc
	v_addc_co_u32_e64 v33, s[12:13], v38, v45, s[12:13]
	global_load_sbyte v28, v[28:29], off
	s_nop 0
	global_load_sbyte v29, v[36:37], off
	s_nop 0
	;; [unrolled: 2-line block ×3, first 2 shown]
	global_load_sbyte v31, v[32:33], off
	v_add_u32_e32 v25, -4, v25
	v_cmp_eq_u32_e32 vcc, 0, v25
	v_add_u32_e32 v19, 0x80, v19
	v_add_u32_e32 v18, 0x80, v18
	s_or_b64 s[50:51], vcc, s[50:51]
	s_waitcnt vmcnt(3)
	v_mad_i32_i24 v24, v43, v28, v24
	s_waitcnt vmcnt(2)
	v_mad_i32_i24 v10, v44, v29, v10
	;; [unrolled: 2-line block ×4, first 2 shown]
	s_andn2_b64 exec, exec, s[50:51]
	s_cbranch_execnz .LBB41_23
; %bb.24:                               ;   in Loop: Header=BB41_19 Depth=2
	s_or_b64 exec, exec, s[50:51]
	v_add_u32_e32 v0, v27, v10
	v_add3_u32 v24, v26, v24, v0
	s_orn2_b64 s[12:13], s[8:9], exec
	v_mov_b32_e32 v10, v22
.LBB41_25:                              ;   in Loop: Header=BB41_19 Depth=2
	s_or_b64 exec, exec, s[48:49]
	s_andn2_b64 s[14:15], s[40:41], exec
	s_and_b64 s[12:13], s[12:13], exec
	s_or_b64 s[14:15], s[14:15], s[12:13]
.LBB41_26:                              ;   in Loop: Header=BB41_19 Depth=2
	s_or_b64 exec, exec, s[46:47]
	s_and_saveexec_b64 s[12:13], s[14:15]
	s_cbranch_execz .LBB41_17
; %bb.27:                               ;   in Loop: Header=BB41_19 Depth=2
	v_mul_lo_u32 v4, s52, v10
	s_mov_b64 s[14:15], 0
	v_pk_mov_b32 v[0:1], v[10:11], v[10:11] op_sel:[0,1]
	s_branch .LBB41_29
.LBB41_28:                              ;   in Loop: Header=BB41_29 Depth=3
	v_mov_b32_e32 v5, s23
	v_add_co_u32_e32 v2, vcc, s22, v2
	v_addc_co_u32_e32 v3, vcc, v5, v3, vcc
	global_load_sbyte v5, v[2:3], off
	v_add_u32_e32 v2, s60, v0
	v_ashrrev_i32_e32 v3, 31, v2
	v_mov_b32_e32 v10, s29
	v_add_co_u32_e32 v2, vcc, s28, v2
	v_addc_co_u32_e32 v3, vcc, v10, v3, vcc
	global_load_sbyte v2, v[2:3], off
	v_add_co_u32_e32 v0, vcc, 32, v0
	v_addc_co_u32_e32 v1, vcc, 0, v1, vcc
	v_cmp_le_i32_e32 vcc, s52, v0
	s_or_b64 s[14:15], vcc, s[14:15]
	v_add_u32_e32 v4, s59, v4
	s_waitcnt vmcnt(0)
	v_mad_i32_i24 v24, v2, v5, v24
	s_andn2_b64 exec, exec, s[14:15]
	s_cbranch_execz .LBB41_16
.LBB41_29:                              ;   Parent Loop BB41_14 Depth=1
                                        ;     Parent Loop BB41_19 Depth=2
                                        ; =>    This Inner Loop Header: Depth=3
	s_and_b64 vcc, exec, s[36:37]
	s_cbranch_vccz .LBB41_31
; %bb.30:                               ;   in Loop: Header=BB41_29 Depth=3
	v_ashrrev_i32_e32 v3, 31, v4
	v_add_co_u32_e32 v2, vcc, v16, v4
	v_addc_co_u32_e32 v3, vcc, v17, v3, vcc
	s_cbranch_execnz .LBB41_28
	s_branch .LBB41_32
.LBB41_31:                              ;   in Loop: Header=BB41_29 Depth=3
                                        ; implicit-def: $vgpr2_vgpr3
.LBB41_32:                              ;   in Loop: Header=BB41_29 Depth=3
	v_add_co_u32_e32 v2, vcc, v12, v0
	v_addc_co_u32_e32 v3, vcc, v13, v1, vcc
	s_branch .LBB41_28
.LBB41_33:                              ;   in Loop: Header=BB41_14 Depth=1
	s_nop 0
	v_mov_b32_dpp v0, v24 row_shr:1 row_mask:0xf bank_mask:0xf
	v_add_u32_e32 v0, v0, v24
	s_nop 1
	v_mov_b32_dpp v1, v0 row_shr:2 row_mask:0xf bank_mask:0xf
	v_add_u32_e32 v0, v0, v1
	;; [unrolled: 3-line block ×4, first 2 shown]
	s_nop 1
	v_mov_b32_dpp v1, v0 row_bcast:15 row_mask:0xa bank_mask:0xf
	s_and_saveexec_b64 s[12:13], s[4:5]
	s_cbranch_execz .LBB41_13
; %bb.34:                               ;   in Loop: Header=BB41_14 Depth=1
	v_add_u32_e32 v0, v0, v1
	v_add_u32_e32 v2, s55, v6
	s_andn2_b64 vcc, exec, s[38:39]
	v_mul_lo_u32 v0, v0, s25
	v_ashrrev_i32_e32 v3, 31, v2
	s_cbranch_vccnz .LBB41_36
; %bb.35:                               ;   in Loop: Header=BB41_14 Depth=1
	v_lshlrev_b64 v[4:5], 2, v[2:3]
	v_mov_b32_e32 v1, s27
	v_add_co_u32_e32 v4, vcc, s26, v4
	v_addc_co_u32_e32 v5, vcc, v1, v5, vcc
	global_load_dword v1, v[4:5], off
	s_waitcnt vmcnt(0)
	v_mad_u64_u32 v[12:13], s[14:15], v1, s33, v[0:1]
	global_store_dword v[4:5], v12, off
	s_cbranch_execnz .LBB41_13
	s_branch .LBB41_37
.LBB41_36:                              ;   in Loop: Header=BB41_14 Depth=1
.LBB41_37:                              ;   in Loop: Header=BB41_14 Depth=1
	v_lshlrev_b64 v[2:3], 2, v[2:3]
	v_mov_b32_e32 v1, s27
	v_add_co_u32_e32 v2, vcc, s26, v2
	v_addc_co_u32_e32 v3, vcc, v1, v3, vcc
	global_store_dword v[2:3], v0, off
	s_branch .LBB41_13
.LBB41_38:
	s_endpgm
	.section	.rodata,"a",@progbits
	.p2align	6, 0x0
	.amdhsa_kernel _ZN9rocsparseL22bsrxmvn_general_kernelILj1024ELj32EiliaaiEEv20rocsparse_direction_NS_24const_host_device_scalarIT1_EET3_PKS5_PKT2_SA_S7_PKT4_S5_PKT5_S4_PT6_21rocsparse_index_base_b
		.amdhsa_group_segment_fixed_size 0
		.amdhsa_private_segment_fixed_size 0
		.amdhsa_kernarg_size 104
		.amdhsa_user_sgpr_count 6
		.amdhsa_user_sgpr_private_segment_buffer 1
		.amdhsa_user_sgpr_dispatch_ptr 0
		.amdhsa_user_sgpr_queue_ptr 0
		.amdhsa_user_sgpr_kernarg_segment_ptr 1
		.amdhsa_user_sgpr_dispatch_id 0
		.amdhsa_user_sgpr_flat_scratch_init 0
		.amdhsa_user_sgpr_kernarg_preload_length 0
		.amdhsa_user_sgpr_kernarg_preload_offset 0
		.amdhsa_user_sgpr_private_segment_size 0
		.amdhsa_uses_dynamic_stack 0
		.amdhsa_system_sgpr_private_segment_wavefront_offset 0
		.amdhsa_system_sgpr_workgroup_id_x 1
		.amdhsa_system_sgpr_workgroup_id_y 0
		.amdhsa_system_sgpr_workgroup_id_z 0
		.amdhsa_system_sgpr_workgroup_info 0
		.amdhsa_system_vgpr_workitem_id 0
		.amdhsa_next_free_vgpr 55
		.amdhsa_next_free_sgpr 62
		.amdhsa_accum_offset 56
		.amdhsa_reserve_vcc 1
		.amdhsa_reserve_flat_scratch 0
		.amdhsa_float_round_mode_32 0
		.amdhsa_float_round_mode_16_64 0
		.amdhsa_float_denorm_mode_32 3
		.amdhsa_float_denorm_mode_16_64 3
		.amdhsa_dx10_clamp 1
		.amdhsa_ieee_mode 1
		.amdhsa_fp16_overflow 0
		.amdhsa_tg_split 0
		.amdhsa_exception_fp_ieee_invalid_op 0
		.amdhsa_exception_fp_denorm_src 0
		.amdhsa_exception_fp_ieee_div_zero 0
		.amdhsa_exception_fp_ieee_overflow 0
		.amdhsa_exception_fp_ieee_underflow 0
		.amdhsa_exception_fp_ieee_inexact 0
		.amdhsa_exception_int_div_zero 0
	.end_amdhsa_kernel
	.section	.text._ZN9rocsparseL22bsrxmvn_general_kernelILj1024ELj32EiliaaiEEv20rocsparse_direction_NS_24const_host_device_scalarIT1_EET3_PKS5_PKT2_SA_S7_PKT4_S5_PKT5_S4_PT6_21rocsparse_index_base_b,"axG",@progbits,_ZN9rocsparseL22bsrxmvn_general_kernelILj1024ELj32EiliaaiEEv20rocsparse_direction_NS_24const_host_device_scalarIT1_EET3_PKS5_PKT2_SA_S7_PKT4_S5_PKT5_S4_PT6_21rocsparse_index_base_b,comdat
.Lfunc_end41:
	.size	_ZN9rocsparseL22bsrxmvn_general_kernelILj1024ELj32EiliaaiEEv20rocsparse_direction_NS_24const_host_device_scalarIT1_EET3_PKS5_PKT2_SA_S7_PKT4_S5_PKT5_S4_PT6_21rocsparse_index_base_b, .Lfunc_end41-_ZN9rocsparseL22bsrxmvn_general_kernelILj1024ELj32EiliaaiEEv20rocsparse_direction_NS_24const_host_device_scalarIT1_EET3_PKS5_PKT2_SA_S7_PKT4_S5_PKT5_S4_PT6_21rocsparse_index_base_b
                                        ; -- End function
	.section	.AMDGPU.csdata,"",@progbits
; Kernel info:
; codeLenInByte = 1848
; NumSgprs: 66
; NumVgprs: 55
; NumAgprs: 0
; TotalNumVgprs: 55
; ScratchSize: 0
; MemoryBound: 0
; FloatMode: 240
; IeeeMode: 1
; LDSByteSize: 0 bytes/workgroup (compile time only)
; SGPRBlocks: 8
; VGPRBlocks: 6
; NumSGPRsForWavesPerEU: 66
; NumVGPRsForWavesPerEU: 55
; AccumOffset: 56
; Occupancy: 8
; WaveLimiterHint : 1
; COMPUTE_PGM_RSRC2:SCRATCH_EN: 0
; COMPUTE_PGM_RSRC2:USER_SGPR: 6
; COMPUTE_PGM_RSRC2:TRAP_HANDLER: 0
; COMPUTE_PGM_RSRC2:TGID_X_EN: 1
; COMPUTE_PGM_RSRC2:TGID_Y_EN: 0
; COMPUTE_PGM_RSRC2:TGID_Z_EN: 0
; COMPUTE_PGM_RSRC2:TIDIG_COMP_CNT: 0
; COMPUTE_PGM_RSRC3_GFX90A:ACCUM_OFFSET: 13
; COMPUTE_PGM_RSRC3_GFX90A:TG_SPLIT: 0
	.section	.text._ZN9rocsparseL22bsrxmvn_general_kernelILj64ELj8EillaaiEEv20rocsparse_direction_NS_24const_host_device_scalarIT1_EET3_PKS5_PKT2_SA_S7_PKT4_S5_PKT5_S4_PT6_21rocsparse_index_base_b,"axG",@progbits,_ZN9rocsparseL22bsrxmvn_general_kernelILj64ELj8EillaaiEEv20rocsparse_direction_NS_24const_host_device_scalarIT1_EET3_PKS5_PKT2_SA_S7_PKT4_S5_PKT5_S4_PT6_21rocsparse_index_base_b,comdat
	.globl	_ZN9rocsparseL22bsrxmvn_general_kernelILj64ELj8EillaaiEEv20rocsparse_direction_NS_24const_host_device_scalarIT1_EET3_PKS5_PKT2_SA_S7_PKT4_S5_PKT5_S4_PT6_21rocsparse_index_base_b ; -- Begin function _ZN9rocsparseL22bsrxmvn_general_kernelILj64ELj8EillaaiEEv20rocsparse_direction_NS_24const_host_device_scalarIT1_EET3_PKS5_PKT2_SA_S7_PKT4_S5_PKT5_S4_PT6_21rocsparse_index_base_b
	.p2align	8
	.type	_ZN9rocsparseL22bsrxmvn_general_kernelILj64ELj8EillaaiEEv20rocsparse_direction_NS_24const_host_device_scalarIT1_EET3_PKS5_PKT2_SA_S7_PKT4_S5_PKT5_S4_PT6_21rocsparse_index_base_b,@function
_ZN9rocsparseL22bsrxmvn_general_kernelILj64ELj8EillaaiEEv20rocsparse_direction_NS_24const_host_device_scalarIT1_EET3_PKS5_PKT2_SA_S7_PKT4_S5_PKT5_S4_PT6_21rocsparse_index_base_b: ; @_ZN9rocsparseL22bsrxmvn_general_kernelILj64ELj8EillaaiEEv20rocsparse_direction_NS_24const_host_device_scalarIT1_EET3_PKS5_PKT2_SA_S7_PKT4_S5_PKT5_S4_PT6_21rocsparse_index_base_b
; %bb.0:
	s_load_dwordx2 s[24:25], s[4:5], 0x60
	s_load_dwordx2 s[8:9], s[4:5], 0x8
	s_mov_b64 s[10:11], -1
	s_waitcnt lgkmcnt(0)
	s_bitcmp1_b32 s25, 0
	s_cselect_b64 s[0:1], -1, 0
	s_xor_b64 s[2:3], s[0:1], -1
	s_and_b64 vcc, exec, s[2:3]
                                        ; implicit-def: $sgpr25
	s_cbranch_vccnz .LBB42_4
; %bb.1:
	s_load_dwordx2 s[0:1], s[4:5], 0x50
	s_andn2_b64 vcc, exec, s[10:11]
	s_cbranch_vccz .LBB42_5
.LBB42_2:
	s_and_b64 vcc, exec, s[2:3]
	s_cbranch_vccz .LBB42_6
.LBB42_3:
	s_waitcnt lgkmcnt(0)
	s_load_dword s33, s[0:1], 0x0
	s_cbranch_execz .LBB42_7
	s_branch .LBB42_8
.LBB42_4:
	s_load_dword s25, s[8:9], 0x0
	s_load_dwordx2 s[0:1], s[4:5], 0x50
	s_cbranch_execnz .LBB42_2
.LBB42_5:
	s_waitcnt lgkmcnt(0)
	s_mov_b32 s25, s8
	s_and_b64 vcc, exec, s[2:3]
	s_cbranch_vccnz .LBB42_3
.LBB42_6:
                                        ; implicit-def: $sgpr33
.LBB42_7:
	s_waitcnt lgkmcnt(0)
	s_mov_b32 s33, s0
.LBB42_8:
	s_waitcnt lgkmcnt(0)
	s_cmp_lg_u32 s25, 0
	s_cselect_b64 s[0:1], -1, 0
	s_cmp_lg_u32 s33, 1
	s_cselect_b64 s[2:3], -1, 0
	s_or_b64 s[0:1], s[0:1], s[2:3]
	s_andn2_b64 vcc, exec, s[0:1]
	s_mov_b32 s7, 0
	s_cbranch_vccnz .LBB42_36
; %bb.9:
	s_load_dwordx2 s[0:1], s[4:5], 0x18
	s_waitcnt lgkmcnt(0)
	s_cmp_eq_u64 s[0:1], 0
	s_cbranch_scc1 .LBB42_11
; %bb.10:
	s_lshl_b64 s[2:3], s[6:7], 3
	s_add_u32 s0, s0, s2
	s_addc_u32 s1, s1, s3
	s_load_dwordx2 s[0:1], s[0:1], 0x0
	s_waitcnt lgkmcnt(0)
	s_sub_u32 s6, s0, s24
	s_subb_u32 s7, s1, 0
.LBB42_11:
	s_load_dwordx2 s[26:27], s[4:5], 0x40
	v_lshrrev_b32_e32 v10, 3, v0
	v_mov_b32_e32 v11, 0
	s_waitcnt lgkmcnt(0)
	v_cmp_gt_i64_e32 vcc, s[26:27], v[10:11]
	s_and_saveexec_b64 s[0:1], vcc
	s_cbranch_execz .LBB42_36
; %bb.12:
	s_load_dwordx8 s[16:23], s[4:5], 0x20
	s_lshl_b64 s[0:1], s[6:7], 3
	v_and_b32_e32 v12, 7, v0
	v_or_b32_e32 v2, 8, v12
	v_mov_b32_e32 v3, v11
	s_waitcnt lgkmcnt(0)
	s_add_u32 s2, s16, s0
	s_addc_u32 s3, s17, s1
	s_load_dwordx2 s[10:11], s[2:3], 0x0
	s_load_dwordx2 s[8:9], s[4:5], 0x58
	;; [unrolled: 1-line block ×3, first 2 shown]
	v_mov_b32_e32 v0, s26
	s_load_dword s4, s[4:5], 0x0
	s_waitcnt lgkmcnt(0)
	s_sub_u32 s34, s10, s24
	s_subb_u32 s35, s11, 0
	s_add_u32 s2, s2, 8
	s_addc_u32 s3, s3, 0
	s_add_u32 s0, s18, s0
	s_addc_u32 s1, s19, s1
	s_cmp_eq_u64 s[18:19], 0
	s_cselect_b32 s1, s3, s1
	s_cselect_b32 s0, s2, s0
	s_load_dwordx2 s[2:3], s[0:1], 0x0
	v_cmp_gt_i64_e32 vcc, s[26:27], v[2:3]
	v_cndmask_b32_e32 v0, v2, v0, vcc
	v_mov_b32_e32 v1, s27
	v_not_b32_e32 v3, v12
	s_waitcnt lgkmcnt(0)
	s_sub_u32 s18, s2, s24
	s_subb_u32 s19, s3, 0
	s_cmp_lg_u32 s4, 0
	s_mul_i32 s5, s6, s27
	v_pk_mov_b32 v[4:5], s[2:3], s[2:3] op_sel:[0,1]
	s_cselect_b64 s[36:37], -1, 0
	s_cmp_lg_u32 s33, 0
	s_mul_hi_u32 s2, s6, s26
	v_cndmask_b32_e32 v1, 0, v1, vcc
	v_add_co_u32_e32 v0, vcc, v3, v0
	s_cselect_b64 s[38:39], -1, 0
	s_add_i32 s2, s2, s5
	s_mul_i32 s3, s7, s26
	v_addc_co_u32_e32 v1, vcc, -1, v1, vcc
	s_add_i32 s3, s2, s3
	s_mul_i32 s2, s6, s26
	v_cmp_lt_u64_e64 s[6:7], 23, v[0:1]
	v_lshrrev_b64 v[0:1], 3, v[0:1]
	v_add_co_u32_e32 v6, vcc, 1, v0
	s_lshl_b64 s[2:3], s[2:3], 2
	v_addc_co_u32_e32 v7, vcc, 0, v1, vcc
	s_add_u32 s50, s8, s2
	v_and_b32_e32 v14, -4, v6
	v_mov_b32_e32 v15, v7
	s_addc_u32 s51, s9, s3
	v_cmp_ne_u64_e64 s[8:9], v[6:7], v[14:15]
	v_mov_b32_e32 v6, s29
	v_add_co_u32_e32 v7, vcc, s28, v12
	v_addc_co_u32_e32 v6, vcc, 0, v6, vcc
	v_add_co_u32_e32 v30, vcc, 16, v7
	s_cmp_eq_u32 s4, 0
	v_addc_co_u32_e32 v31, vcc, 0, v6, vcc
	s_mul_i32 s12, s27, s34
	s_mul_i32 s13, s26, s35
	v_mov_b32_e32 v6, s34
	s_cselect_b64 s[2:3], -1, 0
	s_add_i32 s14, s13, s12
	v_mad_u64_u32 v[6:7], s[12:13], s26, v6, v[10:11]
	v_mad_u64_u32 v[18:19], s[12:13], s26, v6, 0
	v_add_u32_e32 v7, s14, v7
	s_mul_i32 s12, s26, s27
	s_mul_hi_u32 s13, s26, s26
	v_mov_b32_e32 v13, v11
	v_lshlrev_b64 v[16:17], 3, v[14:15]
	v_mul_lo_u32 v7, s26, v7
	v_mul_lo_u32 v8, s27, v6
	s_add_i32 s13, s13, s12
	s_mov_b64 s[30:31], 0
	v_cmp_gt_u64_e64 s[0:1], s[26:27], v[12:13]
	v_cmp_eq_u32_e64 s[4:5], 7, v12
	v_or_b32_e32 v16, v16, v12
	v_mov_b32_e32 v0, v12
	v_mov_b32_e32 v1, v11
	;; [unrolled: 1-line block ×3, first 2 shown]
	s_mov_b32 s52, s26
	s_mov_b32 s53, s27
	v_add3_u32 v19, v19, v7, v8
	s_lshl_b64 s[40:41], s[26:27], 3
	s_add_i32 s54, s13, s12
	s_mul_i32 s55, s26, s26
	v_cmp_lt_i64_e64 s[10:11], s[10:11], v[4:5]
	s_branch .LBB42_14
.LBB42_13:                              ;   in Loop: Header=BB42_14 Depth=1
	s_or_b64 exec, exec, s[12:13]
	v_add_co_u32_e32 v10, vcc, 8, v10
	v_addc_co_u32_e32 v11, vcc, 0, v11, vcc
	v_cmp_le_i64_e32 vcc, s[26:27], v[10:11]
	v_mov_b32_e32 v4, s41
	s_or_b64 s[30:31], vcc, s[30:31]
	v_add_co_u32_e32 v18, vcc, s40, v18
	v_addc_co_u32_e32 v19, vcc, v19, v4, vcc
	s_andn2_b64 exec, exec, s[30:31]
	s_cbranch_execz .LBB42_36
.LBB42_14:                              ; =>This Loop Header: Depth=1
                                        ;     Child Loop BB42_19 Depth 2
                                        ;       Child Loop BB42_22 Depth 3
                                        ;       Child Loop BB42_27 Depth 3
	s_andn2_b64 vcc, exec, s[10:11]
	v_mov_b32_e32 v32, 0
	s_cbranch_vccnz .LBB42_31
; %bb.15:                               ;   in Loop: Header=BB42_14 Depth=1
	v_mov_b32_e32 v20, v10
	v_mov_b32_e32 v21, v11
	;; [unrolled: 1-line block ×3, first 2 shown]
	v_pk_mov_b32 v[22:23], v[18:19], v[18:19] op_sel:[0,1]
	s_mov_b64 s[42:43], s[34:35]
	s_branch .LBB42_19
.LBB42_16:                              ;   in Loop: Header=BB42_19 Depth=2
	s_or_b64 exec, exec, s[14:15]
.LBB42_17:                              ;   in Loop: Header=BB42_19 Depth=2
	s_or_b64 exec, exec, s[12:13]
.LBB42_18:                              ;   in Loop: Header=BB42_19 Depth=2
	s_or_b64 exec, exec, s[44:45]
	s_add_u32 s42, s42, 1
	v_mov_b32_e32 v4, s54
	v_add_co_u32_e32 v22, vcc, s55, v22
	s_addc_u32 s43, s43, 0
	v_addc_co_u32_e32 v23, vcc, v23, v4, vcc
	v_pk_mov_b32 v[4:5], s[18:19], s[18:19] op_sel:[0,1]
	v_cmp_ge_i64_e32 vcc, s[42:43], v[4:5]
	s_cbranch_vccnz .LBB42_31
.LBB42_19:                              ;   Parent Loop BB42_14 Depth=1
                                        ; =>  This Loop Header: Depth=2
                                        ;       Child Loop BB42_22 Depth 3
                                        ;       Child Loop BB42_27 Depth 3
	s_and_saveexec_b64 s[44:45], s[0:1]
	s_cbranch_execz .LBB42_18
; %bb.20:                               ;   in Loop: Header=BB42_19 Depth=2
	s_lshl_b64 s[12:13], s[42:43], 3
	s_add_u32 s12, s20, s12
	s_addc_u32 s13, s21, s13
	s_load_dwordx2 s[12:13], s[12:13], 0x0
	s_mul_i32 s14, s42, s27
	s_mul_hi_u32 s15, s42, s26
	s_mul_i32 s16, s43, s26
	s_mul_i32 s57, s42, s26
	s_waitcnt lgkmcnt(0)
	s_sub_u32 s59, s12, s24
	s_subb_u32 s12, s13, 0
	s_add_i32 s13, s15, s14
	s_add_i32 s56, s13, s16
	s_mul_i32 s13, s59, s27
	s_mul_hi_u32 s14, s59, s26
	s_add_i32 s58, s14, s13
	s_mul_i32 s12, s12, s26
	s_add_i32 s58, s58, s12
	s_mul_i32 s59, s59, s26
	s_mov_b64 s[14:15], -1
	v_pk_mov_b32 v[4:5], v[12:13], v[12:13] op_sel:[0,1]
	s_and_saveexec_b64 s[46:47], s[6:7]
	s_cbranch_execz .LBB42_24
; %bb.21:                               ;   in Loop: Header=BB42_19 Depth=2
	v_mov_b32_e32 v4, s56
	v_add_co_u32_e32 v5, vcc, s57, v10
	v_addc_co_u32_e32 v4, vcc, v4, v11, vcc
	v_mul_lo_u32 v4, v4, s26
	v_mul_lo_u32 v6, v5, s27
	v_mad_u64_u32 v[24:25], s[12:13], v5, s26, 0
	v_add3_u32 v25, v25, v6, v4
	v_mov_b32_e32 v6, s58
	v_add_co_u32_e32 v26, vcc, s59, v30
	v_addc_co_u32_e32 v27, vcc, v31, v6, vcc
	v_pk_mov_b32 v[8:9], v[2:3], v[2:3] op_sel:[0,1]
	s_mov_b32 s60, s57
	s_mov_b32 s61, s56
	v_mov_b32_e32 v4, v24
	v_mov_b32_e32 v5, v25
	s_mov_b64 s[48:49], 0
	v_mov_b32_e32 v33, 0
	v_pk_mov_b32 v[28:29], v[14:15], v[14:15] op_sel:[0,1]
	v_pk_mov_b32 v[6:7], v[0:1], v[0:1] op_sel:[0,1]
	v_mov_b32_e32 v34, 0
	v_mov_b32_e32 v35, 0
.LBB42_22:                              ;   Parent Loop BB42_14 Depth=1
                                        ;     Parent Loop BB42_19 Depth=2
                                        ; =>    This Inner Loop Header: Depth=3
	v_add_co_u32_e32 v40, vcc, 16, v6
	v_addc_co_u32_e32 v41, vcc, 0, v7, vcc
	v_add_co_u32_e32 v42, vcc, 16, v8
	v_addc_co_u32_e32 v43, vcc, 0, v9, vcc
	v_mov_b32_e32 v37, s56
	v_add_co_u32_e32 v38, vcc, s57, v6
	v_add_co_u32_e64 v45, s[12:13], v6, v24
	v_addc_co_u32_e32 v56, vcc, v7, v37, vcc
	v_mov_b32_e32 v39, s61
	v_addc_co_u32_e64 v46, s[12:13], v7, v25, s[12:13]
	v_add_co_u32_e32 v57, vcc, s60, v42
	v_add_co_u32_e64 v47, s[12:13], v8, v4
	v_addc_co_u32_e32 v58, vcc, v43, v39, vcc
	v_mov_b32_e32 v44, s56
	v_addc_co_u32_e64 v48, s[12:13], v9, v5, s[12:13]
	v_add_co_u32_e32 v59, vcc, s57, v40
	v_mov_b32_e32 v36, s61
	v_add_co_u32_e64 v54, s[12:13], s60, v8
	v_addc_co_u32_e32 v44, vcc, v41, v44, vcc
	v_addc_co_u32_e64 v55, s[12:13], v9, v36, s[12:13]
	v_mul_lo_u32 v60, v38, s27
	v_mad_u64_u32 v[36:37], s[12:13], v38, s26, v[10:11]
	v_mul_lo_u32 v61, v54, s53
	v_mad_u64_u32 v[38:39], s[12:13], v54, s52, v[20:21]
	v_add_co_u32_e32 v54, vcc, v40, v24
	v_addc_co_u32_e32 v62, vcc, v41, v25, vcc
	v_add_co_u32_e32 v63, vcc, v42, v4
	v_mul_lo_u32 v56, v56, s26
	v_mul_lo_u32 v55, v55, s52
	v_addc_co_u32_e32 v64, vcc, v43, v5, vcc
	v_mul_lo_u32 v65, v59, s27
	v_mul_lo_u32 v44, v44, s26
	v_mad_u64_u32 v[40:41], s[12:13], v59, s26, v[10:11]
	v_mul_lo_u32 v59, v57, s53
	v_mul_lo_u32 v58, v58, s52
	v_mad_u64_u32 v[42:43], s[12:13], v57, s52, v[20:21]
	v_cndmask_b32_e64 v38, v38, v47, s[2:3]
	v_cndmask_b32_e64 v45, v36, v45, s[2:3]
	v_add3_u32 v36, v56, v37, v60
	v_add3_u32 v37, v55, v39, v61
	v_mov_b32_e32 v49, s23
	v_add3_u32 v39, v44, v41, v65
	v_add3_u32 v41, v58, v43, v59
	v_cndmask_b32_e64 v42, v42, v63, s[2:3]
	v_cndmask_b32_e64 v40, v40, v54, s[2:3]
	;; [unrolled: 1-line block ×4, first 2 shown]
	v_add_co_u32_e32 v36, vcc, s22, v38
	v_cndmask_b32_e64 v41, v41, v64, s[2:3]
	v_cndmask_b32_e64 v39, v39, v62, s[2:3]
	v_add_co_u32_e64 v38, s[12:13], s22, v40
	v_add_co_u32_e64 v40, s[14:15], s22, v42
	;; [unrolled: 1-line block ×3, first 2 shown]
	v_addc_co_u32_e32 v37, vcc, v49, v37, vcc
	global_load_sbyte v50, v[26:27], off offset:-16
	global_load_sbyte v51, v[26:27], off offset:-8
	global_load_sbyte v52, v[26:27], off
	global_load_sbyte v53, v[26:27], off offset:8
	v_addc_co_u32_e64 v43, s[16:17], v49, v43, s[16:17]
	v_addc_co_u32_e64 v39, vcc, v49, v39, s[12:13]
	v_addc_co_u32_e64 v41, vcc, v49, v41, s[14:15]
	global_load_sbyte v36, v[36:37], off
	s_nop 0
	global_load_sbyte v37, v[42:43], off
	s_nop 0
	;; [unrolled: 2-line block ×3, first 2 shown]
	global_load_sbyte v38, v[38:39], off
	v_add_co_u32_e64 v28, s[12:13], -4, v28
	v_addc_co_u32_e64 v29, s[12:13], -1, v29, s[12:13]
	v_add_co_u32_e32 v6, vcc, 32, v6
	v_add_co_u32_e64 v26, s[12:13], 32, v26
	v_addc_co_u32_e64 v27, s[12:13], 0, v27, s[12:13]
	v_addc_co_u32_e32 v7, vcc, 0, v7, vcc
	v_add_co_u32_e64 v8, s[12:13], 32, v8
	v_cmp_eq_u64_e32 vcc, 0, v[28:29]
	v_addc_co_u32_e64 v9, s[12:13], 0, v9, s[12:13]
	s_or_b64 s[48:49], vcc, s[48:49]
	s_waitcnt vmcnt(3)
	v_mad_i32_i24 v33, v51, v36, v33
	s_waitcnt vmcnt(2)
	v_mad_i32_i24 v32, v50, v37, v32
	s_waitcnt vmcnt(1)
	v_mad_i32_i24 v35, v53, v40, v35
	s_waitcnt vmcnt(0)
	v_mad_i32_i24 v34, v52, v38, v34
	s_andn2_b64 exec, exec, s[48:49]
	s_cbranch_execnz .LBB42_22
; %bb.23:                               ;   in Loop: Header=BB42_19 Depth=2
	s_or_b64 exec, exec, s[48:49]
	v_add_u32_e32 v4, v35, v33
	v_add3_u32 v32, v34, v32, v4
	s_orn2_b64 s[14:15], s[8:9], exec
	v_pk_mov_b32 v[4:5], v[16:17], v[16:17] op_sel:[0,1]
.LBB42_24:                              ;   in Loop: Header=BB42_19 Depth=2
	s_or_b64 exec, exec, s[46:47]
	s_and_saveexec_b64 s[12:13], s[14:15]
	s_cbranch_execz .LBB42_17
; %bb.25:                               ;   in Loop: Header=BB42_19 Depth=2
	s_add_u32 s46, s28, s59
	s_addc_u32 s47, s29, s58
	s_mov_b64 s[14:15], 0
	s_branch .LBB42_27
.LBB42_26:                              ;   in Loop: Header=BB42_27 Depth=3
	v_mov_b32_e32 v8, s23
	v_add_co_u32_e32 v6, vcc, s22, v6
	v_addc_co_u32_e32 v7, vcc, v8, v7, vcc
	global_load_sbyte v8, v[6:7], off
	v_mov_b32_e32 v7, s47
	v_add_co_u32_e32 v6, vcc, s46, v4
	v_addc_co_u32_e32 v7, vcc, v7, v5, vcc
	global_load_sbyte v6, v[6:7], off
	v_add_co_u32_e32 v4, vcc, 8, v4
	v_addc_co_u32_e32 v5, vcc, 0, v5, vcc
	v_cmp_le_i64_e32 vcc, s[26:27], v[4:5]
	s_or_b64 s[14:15], vcc, s[14:15]
	s_waitcnt vmcnt(0)
	v_mad_i32_i24 v32, v6, v8, v32
	s_andn2_b64 exec, exec, s[14:15]
	s_cbranch_execz .LBB42_16
.LBB42_27:                              ;   Parent Loop BB42_14 Depth=1
                                        ;     Parent Loop BB42_19 Depth=2
                                        ; =>    This Inner Loop Header: Depth=3
	s_and_b64 vcc, exec, s[36:37]
	s_cbranch_vccz .LBB42_29
; %bb.28:                               ;   in Loop: Header=BB42_27 Depth=3
	v_mov_b32_e32 v6, s56
	v_add_co_u32_e32 v7, vcc, s57, v4
	v_addc_co_u32_e32 v6, vcc, v5, v6, vcc
	v_mul_lo_u32 v8, v7, s27
	v_mul_lo_u32 v9, v6, s26
	v_mad_u64_u32 v[6:7], s[16:17], v7, s26, v[10:11]
	v_add3_u32 v7, v9, v7, v8
	s_cbranch_execnz .LBB42_26
	s_branch .LBB42_30
.LBB42_29:                              ;   in Loop: Header=BB42_27 Depth=3
                                        ; implicit-def: $vgpr6_vgpr7
.LBB42_30:                              ;   in Loop: Header=BB42_27 Depth=3
	v_add_co_u32_e32 v6, vcc, v22, v4
	v_addc_co_u32_e32 v7, vcc, v23, v5, vcc
	s_branch .LBB42_26
.LBB42_31:                              ;   in Loop: Header=BB42_14 Depth=1
	s_nop 0
	v_mov_b32_dpp v4, v32 row_shr:1 row_mask:0xf bank_mask:0xf
	v_add_u32_e32 v4, v4, v32
	s_nop 1
	v_mov_b32_dpp v5, v4 row_shr:2 row_mask:0xf bank_mask:0xf
	v_add_u32_e32 v4, v4, v5
	s_nop 1
	v_mov_b32_dpp v5, v4 row_shr:4 row_mask:0xf bank_mask:0xe
	s_and_saveexec_b64 s[12:13], s[4:5]
	s_cbranch_execz .LBB42_13
; %bb.32:                               ;   in Loop: Header=BB42_14 Depth=1
	v_add_u32_e32 v4, v4, v5
	s_andn2_b64 vcc, exec, s[38:39]
	v_lshlrev_b64 v[6:7], 2, v[10:11]
	v_mul_lo_u32 v4, v4, s25
	s_cbranch_vccnz .LBB42_34
; %bb.33:                               ;   in Loop: Header=BB42_14 Depth=1
	v_mov_b32_e32 v5, s51
	v_add_co_u32_e32 v8, vcc, s50, v6
	v_addc_co_u32_e32 v9, vcc, v5, v7, vcc
	global_load_dword v5, v[8:9], off
	s_waitcnt vmcnt(0)
	v_mad_u64_u32 v[20:21], s[14:15], v5, s33, v[4:5]
	global_store_dword v[8:9], v20, off
	s_cbranch_execnz .LBB42_13
	s_branch .LBB42_35
.LBB42_34:                              ;   in Loop: Header=BB42_14 Depth=1
.LBB42_35:                              ;   in Loop: Header=BB42_14 Depth=1
	v_mov_b32_e32 v5, s51
	v_add_co_u32_e32 v6, vcc, s50, v6
	v_addc_co_u32_e32 v7, vcc, v5, v7, vcc
	global_store_dword v[6:7], v4, off
	s_branch .LBB42_13
.LBB42_36:
	s_endpgm
	.section	.rodata,"a",@progbits
	.p2align	6, 0x0
	.amdhsa_kernel _ZN9rocsparseL22bsrxmvn_general_kernelILj64ELj8EillaaiEEv20rocsparse_direction_NS_24const_host_device_scalarIT1_EET3_PKS5_PKT2_SA_S7_PKT4_S5_PKT5_S4_PT6_21rocsparse_index_base_b
		.amdhsa_group_segment_fixed_size 0
		.amdhsa_private_segment_fixed_size 0
		.amdhsa_kernarg_size 104
		.amdhsa_user_sgpr_count 6
		.amdhsa_user_sgpr_private_segment_buffer 1
		.amdhsa_user_sgpr_dispatch_ptr 0
		.amdhsa_user_sgpr_queue_ptr 0
		.amdhsa_user_sgpr_kernarg_segment_ptr 1
		.amdhsa_user_sgpr_dispatch_id 0
		.amdhsa_user_sgpr_flat_scratch_init 0
		.amdhsa_user_sgpr_kernarg_preload_length 0
		.amdhsa_user_sgpr_kernarg_preload_offset 0
		.amdhsa_user_sgpr_private_segment_size 0
		.amdhsa_uses_dynamic_stack 0
		.amdhsa_system_sgpr_private_segment_wavefront_offset 0
		.amdhsa_system_sgpr_workgroup_id_x 1
		.amdhsa_system_sgpr_workgroup_id_y 0
		.amdhsa_system_sgpr_workgroup_id_z 0
		.amdhsa_system_sgpr_workgroup_info 0
		.amdhsa_system_vgpr_workitem_id 0
		.amdhsa_next_free_vgpr 66
		.amdhsa_next_free_sgpr 62
		.amdhsa_accum_offset 68
		.amdhsa_reserve_vcc 1
		.amdhsa_reserve_flat_scratch 0
		.amdhsa_float_round_mode_32 0
		.amdhsa_float_round_mode_16_64 0
		.amdhsa_float_denorm_mode_32 3
		.amdhsa_float_denorm_mode_16_64 3
		.amdhsa_dx10_clamp 1
		.amdhsa_ieee_mode 1
		.amdhsa_fp16_overflow 0
		.amdhsa_tg_split 0
		.amdhsa_exception_fp_ieee_invalid_op 0
		.amdhsa_exception_fp_denorm_src 0
		.amdhsa_exception_fp_ieee_div_zero 0
		.amdhsa_exception_fp_ieee_overflow 0
		.amdhsa_exception_fp_ieee_underflow 0
		.amdhsa_exception_fp_ieee_inexact 0
		.amdhsa_exception_int_div_zero 0
	.end_amdhsa_kernel
	.section	.text._ZN9rocsparseL22bsrxmvn_general_kernelILj64ELj8EillaaiEEv20rocsparse_direction_NS_24const_host_device_scalarIT1_EET3_PKS5_PKT2_SA_S7_PKT4_S5_PKT5_S4_PT6_21rocsparse_index_base_b,"axG",@progbits,_ZN9rocsparseL22bsrxmvn_general_kernelILj64ELj8EillaaiEEv20rocsparse_direction_NS_24const_host_device_scalarIT1_EET3_PKS5_PKT2_SA_S7_PKT4_S5_PKT5_S4_PT6_21rocsparse_index_base_b,comdat
.Lfunc_end42:
	.size	_ZN9rocsparseL22bsrxmvn_general_kernelILj64ELj8EillaaiEEv20rocsparse_direction_NS_24const_host_device_scalarIT1_EET3_PKS5_PKT2_SA_S7_PKT4_S5_PKT5_S4_PT6_21rocsparse_index_base_b, .Lfunc_end42-_ZN9rocsparseL22bsrxmvn_general_kernelILj64ELj8EillaaiEEv20rocsparse_direction_NS_24const_host_device_scalarIT1_EET3_PKS5_PKT2_SA_S7_PKT4_S5_PKT5_S4_PT6_21rocsparse_index_base_b
                                        ; -- End function
	.section	.AMDGPU.csdata,"",@progbits
; Kernel info:
; codeLenInByte = 1968
; NumSgprs: 66
; NumVgprs: 66
; NumAgprs: 0
; TotalNumVgprs: 66
; ScratchSize: 0
; MemoryBound: 0
; FloatMode: 240
; IeeeMode: 1
; LDSByteSize: 0 bytes/workgroup (compile time only)
; SGPRBlocks: 8
; VGPRBlocks: 8
; NumSGPRsForWavesPerEU: 66
; NumVGPRsForWavesPerEU: 66
; AccumOffset: 68
; Occupancy: 7
; WaveLimiterHint : 1
; COMPUTE_PGM_RSRC2:SCRATCH_EN: 0
; COMPUTE_PGM_RSRC2:USER_SGPR: 6
; COMPUTE_PGM_RSRC2:TRAP_HANDLER: 0
; COMPUTE_PGM_RSRC2:TGID_X_EN: 1
; COMPUTE_PGM_RSRC2:TGID_Y_EN: 0
; COMPUTE_PGM_RSRC2:TGID_Z_EN: 0
; COMPUTE_PGM_RSRC2:TIDIG_COMP_CNT: 0
; COMPUTE_PGM_RSRC3_GFX90A:ACCUM_OFFSET: 16
; COMPUTE_PGM_RSRC3_GFX90A:TG_SPLIT: 0
	.section	.text._ZN9rocsparseL22bsrxmvn_general_kernelILj256ELj16EillaaiEEv20rocsparse_direction_NS_24const_host_device_scalarIT1_EET3_PKS5_PKT2_SA_S7_PKT4_S5_PKT5_S4_PT6_21rocsparse_index_base_b,"axG",@progbits,_ZN9rocsparseL22bsrxmvn_general_kernelILj256ELj16EillaaiEEv20rocsparse_direction_NS_24const_host_device_scalarIT1_EET3_PKS5_PKT2_SA_S7_PKT4_S5_PKT5_S4_PT6_21rocsparse_index_base_b,comdat
	.globl	_ZN9rocsparseL22bsrxmvn_general_kernelILj256ELj16EillaaiEEv20rocsparse_direction_NS_24const_host_device_scalarIT1_EET3_PKS5_PKT2_SA_S7_PKT4_S5_PKT5_S4_PT6_21rocsparse_index_base_b ; -- Begin function _ZN9rocsparseL22bsrxmvn_general_kernelILj256ELj16EillaaiEEv20rocsparse_direction_NS_24const_host_device_scalarIT1_EET3_PKS5_PKT2_SA_S7_PKT4_S5_PKT5_S4_PT6_21rocsparse_index_base_b
	.p2align	8
	.type	_ZN9rocsparseL22bsrxmvn_general_kernelILj256ELj16EillaaiEEv20rocsparse_direction_NS_24const_host_device_scalarIT1_EET3_PKS5_PKT2_SA_S7_PKT4_S5_PKT5_S4_PT6_21rocsparse_index_base_b,@function
_ZN9rocsparseL22bsrxmvn_general_kernelILj256ELj16EillaaiEEv20rocsparse_direction_NS_24const_host_device_scalarIT1_EET3_PKS5_PKT2_SA_S7_PKT4_S5_PKT5_S4_PT6_21rocsparse_index_base_b: ; @_ZN9rocsparseL22bsrxmvn_general_kernelILj256ELj16EillaaiEEv20rocsparse_direction_NS_24const_host_device_scalarIT1_EET3_PKS5_PKT2_SA_S7_PKT4_S5_PKT5_S4_PT6_21rocsparse_index_base_b
; %bb.0:
	s_load_dwordx2 s[24:25], s[4:5], 0x60
	s_load_dwordx2 s[8:9], s[4:5], 0x8
	s_mov_b64 s[10:11], -1
	s_waitcnt lgkmcnt(0)
	s_bitcmp1_b32 s25, 0
	s_cselect_b64 s[0:1], -1, 0
	s_xor_b64 s[2:3], s[0:1], -1
	s_and_b64 vcc, exec, s[2:3]
                                        ; implicit-def: $sgpr25
	s_cbranch_vccnz .LBB43_4
; %bb.1:
	s_load_dwordx2 s[0:1], s[4:5], 0x50
	s_andn2_b64 vcc, exec, s[10:11]
	s_cbranch_vccz .LBB43_5
.LBB43_2:
	s_and_b64 vcc, exec, s[2:3]
	s_cbranch_vccz .LBB43_6
.LBB43_3:
	s_waitcnt lgkmcnt(0)
	s_load_dword s33, s[0:1], 0x0
	s_cbranch_execz .LBB43_7
	s_branch .LBB43_8
.LBB43_4:
	s_load_dword s25, s[8:9], 0x0
	s_load_dwordx2 s[0:1], s[4:5], 0x50
	s_cbranch_execnz .LBB43_2
.LBB43_5:
	s_waitcnt lgkmcnt(0)
	s_mov_b32 s25, s8
	s_and_b64 vcc, exec, s[2:3]
	s_cbranch_vccnz .LBB43_3
.LBB43_6:
                                        ; implicit-def: $sgpr33
.LBB43_7:
	s_waitcnt lgkmcnt(0)
	s_mov_b32 s33, s0
.LBB43_8:
	s_waitcnt lgkmcnt(0)
	s_cmp_lg_u32 s25, 0
	s_cselect_b64 s[0:1], -1, 0
	s_cmp_lg_u32 s33, 1
	s_cselect_b64 s[2:3], -1, 0
	s_or_b64 s[0:1], s[0:1], s[2:3]
	s_andn2_b64 vcc, exec, s[0:1]
	s_mov_b32 s7, 0
	s_cbranch_vccnz .LBB43_36
; %bb.9:
	s_load_dwordx2 s[0:1], s[4:5], 0x18
	s_waitcnt lgkmcnt(0)
	s_cmp_eq_u64 s[0:1], 0
	s_cbranch_scc1 .LBB43_11
; %bb.10:
	s_lshl_b64 s[2:3], s[6:7], 3
	s_add_u32 s0, s0, s2
	s_addc_u32 s1, s1, s3
	s_load_dwordx2 s[0:1], s[0:1], 0x0
	s_waitcnt lgkmcnt(0)
	s_sub_u32 s6, s0, s24
	s_subb_u32 s7, s1, 0
.LBB43_11:
	s_load_dwordx2 s[26:27], s[4:5], 0x40
	v_lshrrev_b32_e32 v10, 4, v0
	v_mov_b32_e32 v11, 0
	s_waitcnt lgkmcnt(0)
	v_cmp_gt_i64_e32 vcc, s[26:27], v[10:11]
	s_and_saveexec_b64 s[0:1], vcc
	s_cbranch_execz .LBB43_36
; %bb.12:
	s_load_dwordx8 s[16:23], s[4:5], 0x20
	s_lshl_b64 s[0:1], s[6:7], 3
	v_and_b32_e32 v12, 15, v0
	v_or_b32_e32 v2, 16, v12
	v_mov_b32_e32 v3, v11
	s_waitcnt lgkmcnt(0)
	s_add_u32 s2, s16, s0
	s_addc_u32 s3, s17, s1
	s_load_dwordx2 s[10:11], s[2:3], 0x0
	s_load_dwordx2 s[8:9], s[4:5], 0x58
	;; [unrolled: 1-line block ×3, first 2 shown]
	v_mov_b32_e32 v0, s26
	s_load_dword s4, s[4:5], 0x0
	s_waitcnt lgkmcnt(0)
	s_sub_u32 s34, s10, s24
	s_subb_u32 s35, s11, 0
	s_add_u32 s2, s2, 8
	s_addc_u32 s3, s3, 0
	s_add_u32 s0, s18, s0
	s_addc_u32 s1, s19, s1
	s_cmp_eq_u64 s[18:19], 0
	s_cselect_b32 s1, s3, s1
	s_cselect_b32 s0, s2, s0
	s_load_dwordx2 s[2:3], s[0:1], 0x0
	v_cmp_gt_i64_e32 vcc, s[26:27], v[2:3]
	v_cndmask_b32_e32 v0, v2, v0, vcc
	v_mov_b32_e32 v1, s27
	v_not_b32_e32 v3, v12
	s_waitcnt lgkmcnt(0)
	s_sub_u32 s18, s2, s24
	s_subb_u32 s19, s3, 0
	s_cmp_lg_u32 s4, 0
	s_mul_i32 s5, s6, s27
	v_pk_mov_b32 v[4:5], s[2:3], s[2:3] op_sel:[0,1]
	s_cselect_b64 s[36:37], -1, 0
	s_cmp_lg_u32 s33, 0
	s_mul_hi_u32 s2, s6, s26
	v_cndmask_b32_e32 v1, 0, v1, vcc
	v_add_co_u32_e32 v0, vcc, v3, v0
	s_cselect_b64 s[38:39], -1, 0
	s_add_i32 s2, s2, s5
	s_mul_i32 s3, s7, s26
	v_addc_co_u32_e32 v1, vcc, -1, v1, vcc
	s_add_i32 s3, s2, s3
	s_mul_i32 s2, s6, s26
	v_cmp_lt_u64_e64 s[6:7], 47, v[0:1]
	v_lshrrev_b64 v[0:1], 4, v[0:1]
	v_add_co_u32_e32 v6, vcc, 1, v0
	s_lshl_b64 s[2:3], s[2:3], 2
	v_addc_co_u32_e32 v7, vcc, 0, v1, vcc
	s_add_u32 s50, s8, s2
	v_and_b32_e32 v14, -4, v6
	v_mov_b32_e32 v15, v7
	s_addc_u32 s51, s9, s3
	v_cmp_ne_u64_e64 s[8:9], v[6:7], v[14:15]
	v_mov_b32_e32 v6, s29
	v_add_co_u32_e32 v7, vcc, s28, v12
	v_addc_co_u32_e32 v6, vcc, 0, v6, vcc
	v_add_co_u32_e32 v30, vcc, 32, v7
	s_cmp_eq_u32 s4, 0
	v_addc_co_u32_e32 v31, vcc, 0, v6, vcc
	s_mul_i32 s12, s27, s34
	s_mul_i32 s13, s26, s35
	v_mov_b32_e32 v6, s34
	s_cselect_b64 s[2:3], -1, 0
	s_add_i32 s14, s13, s12
	v_mad_u64_u32 v[6:7], s[12:13], s26, v6, v[10:11]
	v_mad_u64_u32 v[18:19], s[12:13], s26, v6, 0
	v_add_u32_e32 v7, s14, v7
	s_mul_i32 s12, s26, s27
	s_mul_hi_u32 s13, s26, s26
	v_mov_b32_e32 v13, v11
	v_lshlrev_b64 v[16:17], 4, v[14:15]
	v_mul_lo_u32 v7, s26, v7
	v_mul_lo_u32 v8, s27, v6
	s_add_i32 s13, s13, s12
	s_mov_b64 s[30:31], 0
	v_cmp_gt_u64_e64 s[0:1], s[26:27], v[12:13]
	v_cmp_eq_u32_e64 s[4:5], 15, v12
	v_or_b32_e32 v16, v16, v12
	v_mov_b32_e32 v0, v12
	v_mov_b32_e32 v1, v11
	;; [unrolled: 1-line block ×3, first 2 shown]
	s_mov_b32 s52, s26
	s_mov_b32 s53, s27
	v_add3_u32 v19, v19, v7, v8
	s_lshl_b64 s[40:41], s[26:27], 4
	s_add_i32 s54, s13, s12
	s_mul_i32 s55, s26, s26
	v_cmp_lt_i64_e64 s[10:11], s[10:11], v[4:5]
	s_branch .LBB43_14
.LBB43_13:                              ;   in Loop: Header=BB43_14 Depth=1
	s_or_b64 exec, exec, s[12:13]
	v_add_co_u32_e32 v10, vcc, 16, v10
	v_addc_co_u32_e32 v11, vcc, 0, v11, vcc
	v_cmp_le_i64_e32 vcc, s[26:27], v[10:11]
	v_mov_b32_e32 v4, s41
	s_or_b64 s[30:31], vcc, s[30:31]
	v_add_co_u32_e32 v18, vcc, s40, v18
	v_addc_co_u32_e32 v19, vcc, v19, v4, vcc
	s_andn2_b64 exec, exec, s[30:31]
	s_cbranch_execz .LBB43_36
.LBB43_14:                              ; =>This Loop Header: Depth=1
                                        ;     Child Loop BB43_19 Depth 2
                                        ;       Child Loop BB43_22 Depth 3
                                        ;       Child Loop BB43_27 Depth 3
	s_andn2_b64 vcc, exec, s[10:11]
	v_mov_b32_e32 v32, 0
	s_cbranch_vccnz .LBB43_31
; %bb.15:                               ;   in Loop: Header=BB43_14 Depth=1
	v_mov_b32_e32 v20, v10
	v_mov_b32_e32 v21, v11
	;; [unrolled: 1-line block ×3, first 2 shown]
	v_pk_mov_b32 v[22:23], v[18:19], v[18:19] op_sel:[0,1]
	s_mov_b64 s[42:43], s[34:35]
	s_branch .LBB43_19
.LBB43_16:                              ;   in Loop: Header=BB43_19 Depth=2
	s_or_b64 exec, exec, s[14:15]
.LBB43_17:                              ;   in Loop: Header=BB43_19 Depth=2
	s_or_b64 exec, exec, s[12:13]
.LBB43_18:                              ;   in Loop: Header=BB43_19 Depth=2
	s_or_b64 exec, exec, s[44:45]
	s_add_u32 s42, s42, 1
	v_mov_b32_e32 v4, s54
	v_add_co_u32_e32 v22, vcc, s55, v22
	s_addc_u32 s43, s43, 0
	v_addc_co_u32_e32 v23, vcc, v23, v4, vcc
	v_pk_mov_b32 v[4:5], s[18:19], s[18:19] op_sel:[0,1]
	v_cmp_ge_i64_e32 vcc, s[42:43], v[4:5]
	s_cbranch_vccnz .LBB43_31
.LBB43_19:                              ;   Parent Loop BB43_14 Depth=1
                                        ; =>  This Loop Header: Depth=2
                                        ;       Child Loop BB43_22 Depth 3
                                        ;       Child Loop BB43_27 Depth 3
	s_and_saveexec_b64 s[44:45], s[0:1]
	s_cbranch_execz .LBB43_18
; %bb.20:                               ;   in Loop: Header=BB43_19 Depth=2
	s_lshl_b64 s[12:13], s[42:43], 3
	s_add_u32 s12, s20, s12
	s_addc_u32 s13, s21, s13
	s_load_dwordx2 s[12:13], s[12:13], 0x0
	s_mul_i32 s14, s42, s27
	s_mul_hi_u32 s15, s42, s26
	s_mul_i32 s16, s43, s26
	s_mul_i32 s57, s42, s26
	s_waitcnt lgkmcnt(0)
	s_sub_u32 s59, s12, s24
	s_subb_u32 s12, s13, 0
	s_add_i32 s13, s15, s14
	s_add_i32 s56, s13, s16
	s_mul_i32 s13, s59, s27
	s_mul_hi_u32 s14, s59, s26
	s_add_i32 s58, s14, s13
	s_mul_i32 s12, s12, s26
	s_add_i32 s58, s58, s12
	s_mul_i32 s59, s59, s26
	s_mov_b64 s[14:15], -1
	v_pk_mov_b32 v[4:5], v[12:13], v[12:13] op_sel:[0,1]
	s_and_saveexec_b64 s[46:47], s[6:7]
	s_cbranch_execz .LBB43_24
; %bb.21:                               ;   in Loop: Header=BB43_19 Depth=2
	v_mov_b32_e32 v4, s56
	v_add_co_u32_e32 v5, vcc, s57, v10
	v_addc_co_u32_e32 v4, vcc, v4, v11, vcc
	v_mul_lo_u32 v4, v4, s26
	v_mul_lo_u32 v6, v5, s27
	v_mad_u64_u32 v[24:25], s[12:13], v5, s26, 0
	v_add3_u32 v25, v25, v6, v4
	v_mov_b32_e32 v6, s58
	v_add_co_u32_e32 v26, vcc, s59, v30
	v_addc_co_u32_e32 v27, vcc, v31, v6, vcc
	v_pk_mov_b32 v[8:9], v[2:3], v[2:3] op_sel:[0,1]
	s_mov_b32 s60, s57
	s_mov_b32 s61, s56
	v_mov_b32_e32 v4, v24
	v_mov_b32_e32 v5, v25
	s_mov_b64 s[48:49], 0
	v_mov_b32_e32 v33, 0
	v_pk_mov_b32 v[28:29], v[14:15], v[14:15] op_sel:[0,1]
	v_pk_mov_b32 v[6:7], v[0:1], v[0:1] op_sel:[0,1]
	v_mov_b32_e32 v34, 0
	v_mov_b32_e32 v35, 0
.LBB43_22:                              ;   Parent Loop BB43_14 Depth=1
                                        ;     Parent Loop BB43_19 Depth=2
                                        ; =>    This Inner Loop Header: Depth=3
	v_add_co_u32_e32 v40, vcc, 32, v6
	v_addc_co_u32_e32 v41, vcc, 0, v7, vcc
	v_add_co_u32_e32 v42, vcc, 32, v8
	v_addc_co_u32_e32 v43, vcc, 0, v9, vcc
	v_mov_b32_e32 v37, s56
	v_add_co_u32_e32 v38, vcc, s57, v6
	v_add_co_u32_e64 v45, s[12:13], v6, v24
	v_addc_co_u32_e32 v56, vcc, v7, v37, vcc
	v_mov_b32_e32 v39, s61
	v_addc_co_u32_e64 v46, s[12:13], v7, v25, s[12:13]
	v_add_co_u32_e32 v57, vcc, s60, v42
	v_add_co_u32_e64 v47, s[12:13], v8, v4
	v_addc_co_u32_e32 v58, vcc, v43, v39, vcc
	v_mov_b32_e32 v44, s56
	v_addc_co_u32_e64 v48, s[12:13], v9, v5, s[12:13]
	v_add_co_u32_e32 v59, vcc, s57, v40
	v_mov_b32_e32 v36, s61
	v_add_co_u32_e64 v54, s[12:13], s60, v8
	v_addc_co_u32_e32 v44, vcc, v41, v44, vcc
	v_addc_co_u32_e64 v55, s[12:13], v9, v36, s[12:13]
	v_mul_lo_u32 v60, v38, s27
	v_mad_u64_u32 v[36:37], s[12:13], v38, s26, v[10:11]
	v_mul_lo_u32 v61, v54, s53
	v_mad_u64_u32 v[38:39], s[12:13], v54, s52, v[20:21]
	v_add_co_u32_e32 v54, vcc, v40, v24
	v_addc_co_u32_e32 v62, vcc, v41, v25, vcc
	v_add_co_u32_e32 v63, vcc, v42, v4
	v_mul_lo_u32 v56, v56, s26
	v_mul_lo_u32 v55, v55, s52
	v_addc_co_u32_e32 v64, vcc, v43, v5, vcc
	v_mul_lo_u32 v65, v59, s27
	v_mul_lo_u32 v44, v44, s26
	v_mad_u64_u32 v[40:41], s[12:13], v59, s26, v[10:11]
	v_mul_lo_u32 v59, v57, s53
	v_mul_lo_u32 v58, v58, s52
	v_mad_u64_u32 v[42:43], s[12:13], v57, s52, v[20:21]
	v_cndmask_b32_e64 v38, v38, v47, s[2:3]
	v_cndmask_b32_e64 v45, v36, v45, s[2:3]
	v_add3_u32 v36, v56, v37, v60
	v_add3_u32 v37, v55, v39, v61
	v_mov_b32_e32 v49, s23
	v_add3_u32 v39, v44, v41, v65
	v_add3_u32 v41, v58, v43, v59
	v_cndmask_b32_e64 v42, v42, v63, s[2:3]
	v_cndmask_b32_e64 v40, v40, v54, s[2:3]
	;; [unrolled: 1-line block ×4, first 2 shown]
	v_add_co_u32_e32 v36, vcc, s22, v38
	v_cndmask_b32_e64 v41, v41, v64, s[2:3]
	v_cndmask_b32_e64 v39, v39, v62, s[2:3]
	v_add_co_u32_e64 v38, s[12:13], s22, v40
	v_add_co_u32_e64 v40, s[14:15], s22, v42
	;; [unrolled: 1-line block ×3, first 2 shown]
	v_addc_co_u32_e32 v37, vcc, v49, v37, vcc
	global_load_sbyte v50, v[26:27], off offset:-32
	global_load_sbyte v51, v[26:27], off offset:-16
	global_load_sbyte v52, v[26:27], off
	global_load_sbyte v53, v[26:27], off offset:16
	v_addc_co_u32_e64 v43, s[16:17], v49, v43, s[16:17]
	v_addc_co_u32_e64 v39, vcc, v49, v39, s[12:13]
	v_addc_co_u32_e64 v41, vcc, v49, v41, s[14:15]
	global_load_sbyte v36, v[36:37], off
	s_nop 0
	global_load_sbyte v37, v[42:43], off
	s_nop 0
	;; [unrolled: 2-line block ×3, first 2 shown]
	global_load_sbyte v38, v[38:39], off
	v_add_co_u32_e64 v28, s[12:13], -4, v28
	v_addc_co_u32_e64 v29, s[12:13], -1, v29, s[12:13]
	v_add_co_u32_e32 v6, vcc, 64, v6
	v_add_co_u32_e64 v26, s[12:13], 64, v26
	v_addc_co_u32_e64 v27, s[12:13], 0, v27, s[12:13]
	v_addc_co_u32_e32 v7, vcc, 0, v7, vcc
	v_add_co_u32_e64 v8, s[12:13], 64, v8
	v_cmp_eq_u64_e32 vcc, 0, v[28:29]
	v_addc_co_u32_e64 v9, s[12:13], 0, v9, s[12:13]
	s_or_b64 s[48:49], vcc, s[48:49]
	s_waitcnt vmcnt(3)
	v_mad_i32_i24 v33, v51, v36, v33
	s_waitcnt vmcnt(2)
	v_mad_i32_i24 v32, v50, v37, v32
	;; [unrolled: 2-line block ×4, first 2 shown]
	s_andn2_b64 exec, exec, s[48:49]
	s_cbranch_execnz .LBB43_22
; %bb.23:                               ;   in Loop: Header=BB43_19 Depth=2
	s_or_b64 exec, exec, s[48:49]
	v_add_u32_e32 v4, v35, v33
	v_add3_u32 v32, v34, v32, v4
	s_orn2_b64 s[14:15], s[8:9], exec
	v_pk_mov_b32 v[4:5], v[16:17], v[16:17] op_sel:[0,1]
.LBB43_24:                              ;   in Loop: Header=BB43_19 Depth=2
	s_or_b64 exec, exec, s[46:47]
	s_and_saveexec_b64 s[12:13], s[14:15]
	s_cbranch_execz .LBB43_17
; %bb.25:                               ;   in Loop: Header=BB43_19 Depth=2
	s_add_u32 s46, s28, s59
	s_addc_u32 s47, s29, s58
	s_mov_b64 s[14:15], 0
	s_branch .LBB43_27
.LBB43_26:                              ;   in Loop: Header=BB43_27 Depth=3
	v_mov_b32_e32 v8, s23
	v_add_co_u32_e32 v6, vcc, s22, v6
	v_addc_co_u32_e32 v7, vcc, v8, v7, vcc
	global_load_sbyte v8, v[6:7], off
	v_mov_b32_e32 v7, s47
	v_add_co_u32_e32 v6, vcc, s46, v4
	v_addc_co_u32_e32 v7, vcc, v7, v5, vcc
	global_load_sbyte v6, v[6:7], off
	v_add_co_u32_e32 v4, vcc, 16, v4
	v_addc_co_u32_e32 v5, vcc, 0, v5, vcc
	v_cmp_le_i64_e32 vcc, s[26:27], v[4:5]
	s_or_b64 s[14:15], vcc, s[14:15]
	s_waitcnt vmcnt(0)
	v_mad_i32_i24 v32, v6, v8, v32
	s_andn2_b64 exec, exec, s[14:15]
	s_cbranch_execz .LBB43_16
.LBB43_27:                              ;   Parent Loop BB43_14 Depth=1
                                        ;     Parent Loop BB43_19 Depth=2
                                        ; =>    This Inner Loop Header: Depth=3
	s_and_b64 vcc, exec, s[36:37]
	s_cbranch_vccz .LBB43_29
; %bb.28:                               ;   in Loop: Header=BB43_27 Depth=3
	v_mov_b32_e32 v6, s56
	v_add_co_u32_e32 v7, vcc, s57, v4
	v_addc_co_u32_e32 v6, vcc, v5, v6, vcc
	v_mul_lo_u32 v8, v7, s27
	v_mul_lo_u32 v9, v6, s26
	v_mad_u64_u32 v[6:7], s[16:17], v7, s26, v[10:11]
	v_add3_u32 v7, v9, v7, v8
	s_cbranch_execnz .LBB43_26
	s_branch .LBB43_30
.LBB43_29:                              ;   in Loop: Header=BB43_27 Depth=3
                                        ; implicit-def: $vgpr6_vgpr7
.LBB43_30:                              ;   in Loop: Header=BB43_27 Depth=3
	v_add_co_u32_e32 v6, vcc, v22, v4
	v_addc_co_u32_e32 v7, vcc, v23, v5, vcc
	s_branch .LBB43_26
.LBB43_31:                              ;   in Loop: Header=BB43_14 Depth=1
	s_nop 0
	v_mov_b32_dpp v4, v32 row_shr:1 row_mask:0xf bank_mask:0xf
	v_add_u32_e32 v4, v4, v32
	s_nop 1
	v_mov_b32_dpp v5, v4 row_shr:2 row_mask:0xf bank_mask:0xf
	v_add_u32_e32 v4, v4, v5
	s_nop 1
	v_mov_b32_dpp v5, v4 row_shr:4 row_mask:0xf bank_mask:0xe
	v_add_u32_e32 v4, v4, v5
	s_nop 1
	v_mov_b32_dpp v5, v4 row_shr:8 row_mask:0xf bank_mask:0xc
	s_and_saveexec_b64 s[12:13], s[4:5]
	s_cbranch_execz .LBB43_13
; %bb.32:                               ;   in Loop: Header=BB43_14 Depth=1
	v_add_u32_e32 v4, v4, v5
	s_andn2_b64 vcc, exec, s[38:39]
	v_lshlrev_b64 v[6:7], 2, v[10:11]
	v_mul_lo_u32 v4, v4, s25
	s_cbranch_vccnz .LBB43_34
; %bb.33:                               ;   in Loop: Header=BB43_14 Depth=1
	v_mov_b32_e32 v5, s51
	v_add_co_u32_e32 v8, vcc, s50, v6
	v_addc_co_u32_e32 v9, vcc, v5, v7, vcc
	global_load_dword v5, v[8:9], off
	s_waitcnt vmcnt(0)
	v_mad_u64_u32 v[20:21], s[14:15], v5, s33, v[4:5]
	global_store_dword v[8:9], v20, off
	s_cbranch_execnz .LBB43_13
	s_branch .LBB43_35
.LBB43_34:                              ;   in Loop: Header=BB43_14 Depth=1
.LBB43_35:                              ;   in Loop: Header=BB43_14 Depth=1
	v_mov_b32_e32 v5, s51
	v_add_co_u32_e32 v6, vcc, s50, v6
	v_addc_co_u32_e32 v7, vcc, v5, v7, vcc
	global_store_dword v[6:7], v4, off
	s_branch .LBB43_13
.LBB43_36:
	s_endpgm
	.section	.rodata,"a",@progbits
	.p2align	6, 0x0
	.amdhsa_kernel _ZN9rocsparseL22bsrxmvn_general_kernelILj256ELj16EillaaiEEv20rocsparse_direction_NS_24const_host_device_scalarIT1_EET3_PKS5_PKT2_SA_S7_PKT4_S5_PKT5_S4_PT6_21rocsparse_index_base_b
		.amdhsa_group_segment_fixed_size 0
		.amdhsa_private_segment_fixed_size 0
		.amdhsa_kernarg_size 104
		.amdhsa_user_sgpr_count 6
		.amdhsa_user_sgpr_private_segment_buffer 1
		.amdhsa_user_sgpr_dispatch_ptr 0
		.amdhsa_user_sgpr_queue_ptr 0
		.amdhsa_user_sgpr_kernarg_segment_ptr 1
		.amdhsa_user_sgpr_dispatch_id 0
		.amdhsa_user_sgpr_flat_scratch_init 0
		.amdhsa_user_sgpr_kernarg_preload_length 0
		.amdhsa_user_sgpr_kernarg_preload_offset 0
		.amdhsa_user_sgpr_private_segment_size 0
		.amdhsa_uses_dynamic_stack 0
		.amdhsa_system_sgpr_private_segment_wavefront_offset 0
		.amdhsa_system_sgpr_workgroup_id_x 1
		.amdhsa_system_sgpr_workgroup_id_y 0
		.amdhsa_system_sgpr_workgroup_id_z 0
		.amdhsa_system_sgpr_workgroup_info 0
		.amdhsa_system_vgpr_workitem_id 0
		.amdhsa_next_free_vgpr 66
		.amdhsa_next_free_sgpr 62
		.amdhsa_accum_offset 68
		.amdhsa_reserve_vcc 1
		.amdhsa_reserve_flat_scratch 0
		.amdhsa_float_round_mode_32 0
		.amdhsa_float_round_mode_16_64 0
		.amdhsa_float_denorm_mode_32 3
		.amdhsa_float_denorm_mode_16_64 3
		.amdhsa_dx10_clamp 1
		.amdhsa_ieee_mode 1
		.amdhsa_fp16_overflow 0
		.amdhsa_tg_split 0
		.amdhsa_exception_fp_ieee_invalid_op 0
		.amdhsa_exception_fp_denorm_src 0
		.amdhsa_exception_fp_ieee_div_zero 0
		.amdhsa_exception_fp_ieee_overflow 0
		.amdhsa_exception_fp_ieee_underflow 0
		.amdhsa_exception_fp_ieee_inexact 0
		.amdhsa_exception_int_div_zero 0
	.end_amdhsa_kernel
	.section	.text._ZN9rocsparseL22bsrxmvn_general_kernelILj256ELj16EillaaiEEv20rocsparse_direction_NS_24const_host_device_scalarIT1_EET3_PKS5_PKT2_SA_S7_PKT4_S5_PKT5_S4_PT6_21rocsparse_index_base_b,"axG",@progbits,_ZN9rocsparseL22bsrxmvn_general_kernelILj256ELj16EillaaiEEv20rocsparse_direction_NS_24const_host_device_scalarIT1_EET3_PKS5_PKT2_SA_S7_PKT4_S5_PKT5_S4_PT6_21rocsparse_index_base_b,comdat
.Lfunc_end43:
	.size	_ZN9rocsparseL22bsrxmvn_general_kernelILj256ELj16EillaaiEEv20rocsparse_direction_NS_24const_host_device_scalarIT1_EET3_PKS5_PKT2_SA_S7_PKT4_S5_PKT5_S4_PT6_21rocsparse_index_base_b, .Lfunc_end43-_ZN9rocsparseL22bsrxmvn_general_kernelILj256ELj16EillaaiEEv20rocsparse_direction_NS_24const_host_device_scalarIT1_EET3_PKS5_PKT2_SA_S7_PKT4_S5_PKT5_S4_PT6_21rocsparse_index_base_b
                                        ; -- End function
	.section	.AMDGPU.csdata,"",@progbits
; Kernel info:
; codeLenInByte = 1984
; NumSgprs: 66
; NumVgprs: 66
; NumAgprs: 0
; TotalNumVgprs: 66
; ScratchSize: 0
; MemoryBound: 0
; FloatMode: 240
; IeeeMode: 1
; LDSByteSize: 0 bytes/workgroup (compile time only)
; SGPRBlocks: 8
; VGPRBlocks: 8
; NumSGPRsForWavesPerEU: 66
; NumVGPRsForWavesPerEU: 66
; AccumOffset: 68
; Occupancy: 7
; WaveLimiterHint : 1
; COMPUTE_PGM_RSRC2:SCRATCH_EN: 0
; COMPUTE_PGM_RSRC2:USER_SGPR: 6
; COMPUTE_PGM_RSRC2:TRAP_HANDLER: 0
; COMPUTE_PGM_RSRC2:TGID_X_EN: 1
; COMPUTE_PGM_RSRC2:TGID_Y_EN: 0
; COMPUTE_PGM_RSRC2:TGID_Z_EN: 0
; COMPUTE_PGM_RSRC2:TIDIG_COMP_CNT: 0
; COMPUTE_PGM_RSRC3_GFX90A:ACCUM_OFFSET: 16
; COMPUTE_PGM_RSRC3_GFX90A:TG_SPLIT: 0
	.section	.text._ZN9rocsparseL22bsrxmvn_general_kernelILj1024ELj32EillaaiEEv20rocsparse_direction_NS_24const_host_device_scalarIT1_EET3_PKS5_PKT2_SA_S7_PKT4_S5_PKT5_S4_PT6_21rocsparse_index_base_b,"axG",@progbits,_ZN9rocsparseL22bsrxmvn_general_kernelILj1024ELj32EillaaiEEv20rocsparse_direction_NS_24const_host_device_scalarIT1_EET3_PKS5_PKT2_SA_S7_PKT4_S5_PKT5_S4_PT6_21rocsparse_index_base_b,comdat
	.globl	_ZN9rocsparseL22bsrxmvn_general_kernelILj1024ELj32EillaaiEEv20rocsparse_direction_NS_24const_host_device_scalarIT1_EET3_PKS5_PKT2_SA_S7_PKT4_S5_PKT5_S4_PT6_21rocsparse_index_base_b ; -- Begin function _ZN9rocsparseL22bsrxmvn_general_kernelILj1024ELj32EillaaiEEv20rocsparse_direction_NS_24const_host_device_scalarIT1_EET3_PKS5_PKT2_SA_S7_PKT4_S5_PKT5_S4_PT6_21rocsparse_index_base_b
	.p2align	8
	.type	_ZN9rocsparseL22bsrxmvn_general_kernelILj1024ELj32EillaaiEEv20rocsparse_direction_NS_24const_host_device_scalarIT1_EET3_PKS5_PKT2_SA_S7_PKT4_S5_PKT5_S4_PT6_21rocsparse_index_base_b,@function
_ZN9rocsparseL22bsrxmvn_general_kernelILj1024ELj32EillaaiEEv20rocsparse_direction_NS_24const_host_device_scalarIT1_EET3_PKS5_PKT2_SA_S7_PKT4_S5_PKT5_S4_PT6_21rocsparse_index_base_b: ; @_ZN9rocsparseL22bsrxmvn_general_kernelILj1024ELj32EillaaiEEv20rocsparse_direction_NS_24const_host_device_scalarIT1_EET3_PKS5_PKT2_SA_S7_PKT4_S5_PKT5_S4_PT6_21rocsparse_index_base_b
; %bb.0:
	s_load_dwordx2 s[24:25], s[4:5], 0x60
	s_load_dwordx2 s[8:9], s[4:5], 0x8
	s_mov_b64 s[10:11], -1
	s_waitcnt lgkmcnt(0)
	s_bitcmp1_b32 s25, 0
	s_cselect_b64 s[0:1], -1, 0
	s_xor_b64 s[2:3], s[0:1], -1
	s_and_b64 vcc, exec, s[2:3]
                                        ; implicit-def: $sgpr25
	s_cbranch_vccnz .LBB44_4
; %bb.1:
	s_load_dwordx2 s[0:1], s[4:5], 0x50
	s_andn2_b64 vcc, exec, s[10:11]
	s_cbranch_vccz .LBB44_5
.LBB44_2:
	s_and_b64 vcc, exec, s[2:3]
	s_cbranch_vccz .LBB44_6
.LBB44_3:
	s_waitcnt lgkmcnt(0)
	s_load_dword s33, s[0:1], 0x0
	s_cbranch_execz .LBB44_7
	s_branch .LBB44_8
.LBB44_4:
	s_load_dword s25, s[8:9], 0x0
	s_load_dwordx2 s[0:1], s[4:5], 0x50
	s_cbranch_execnz .LBB44_2
.LBB44_5:
	s_waitcnt lgkmcnt(0)
	s_mov_b32 s25, s8
	s_and_b64 vcc, exec, s[2:3]
	s_cbranch_vccnz .LBB44_3
.LBB44_6:
                                        ; implicit-def: $sgpr33
.LBB44_7:
	s_waitcnt lgkmcnt(0)
	s_mov_b32 s33, s0
.LBB44_8:
	s_waitcnt lgkmcnt(0)
	s_cmp_lg_u32 s25, 0
	s_cselect_b64 s[0:1], -1, 0
	s_cmp_lg_u32 s33, 1
	s_cselect_b64 s[2:3], -1, 0
	s_or_b64 s[0:1], s[0:1], s[2:3]
	s_andn2_b64 vcc, exec, s[0:1]
	s_mov_b32 s7, 0
	s_cbranch_vccnz .LBB44_36
; %bb.9:
	s_load_dwordx2 s[0:1], s[4:5], 0x18
	s_waitcnt lgkmcnt(0)
	s_cmp_eq_u64 s[0:1], 0
	s_cbranch_scc1 .LBB44_11
; %bb.10:
	s_lshl_b64 s[2:3], s[6:7], 3
	s_add_u32 s0, s0, s2
	s_addc_u32 s1, s1, s3
	s_load_dwordx2 s[0:1], s[0:1], 0x0
	s_waitcnt lgkmcnt(0)
	s_sub_u32 s6, s0, s24
	s_subb_u32 s7, s1, 0
.LBB44_11:
	s_load_dwordx2 s[26:27], s[4:5], 0x40
	v_lshrrev_b32_e32 v10, 5, v0
	v_mov_b32_e32 v11, 0
	s_waitcnt lgkmcnt(0)
	v_cmp_gt_i64_e32 vcc, s[26:27], v[10:11]
	s_and_saveexec_b64 s[0:1], vcc
	s_cbranch_execz .LBB44_36
; %bb.12:
	s_load_dwordx8 s[16:23], s[4:5], 0x20
	s_lshl_b64 s[0:1], s[6:7], 3
	v_and_b32_e32 v12, 31, v0
	v_or_b32_e32 v2, 32, v12
	v_mov_b32_e32 v3, v11
	s_waitcnt lgkmcnt(0)
	s_add_u32 s2, s16, s0
	s_addc_u32 s3, s17, s1
	s_load_dwordx2 s[10:11], s[2:3], 0x0
	s_load_dwordx2 s[8:9], s[4:5], 0x58
	;; [unrolled: 1-line block ×3, first 2 shown]
	v_mov_b32_e32 v0, s26
	s_load_dword s4, s[4:5], 0x0
	s_waitcnt lgkmcnt(0)
	s_sub_u32 s34, s10, s24
	s_subb_u32 s35, s11, 0
	s_add_u32 s2, s2, 8
	s_addc_u32 s3, s3, 0
	s_add_u32 s0, s18, s0
	s_addc_u32 s1, s19, s1
	s_cmp_eq_u64 s[18:19], 0
	s_cselect_b32 s1, s3, s1
	s_cselect_b32 s0, s2, s0
	s_load_dwordx2 s[2:3], s[0:1], 0x0
	v_cmp_gt_i64_e32 vcc, s[26:27], v[2:3]
	s_mul_i32 s5, s6, s27
	v_cndmask_b32_e32 v0, v2, v0, vcc
	v_mov_b32_e32 v1, s27
	s_waitcnt lgkmcnt(0)
	s_sub_u32 s18, s2, s24
	s_subb_u32 s19, s3, 0
	s_cmp_lg_u32 s4, 0
	v_pk_mov_b32 v[4:5], s[2:3], s[2:3] op_sel:[0,1]
	s_cselect_b64 s[36:37], -1, 0
	s_cmp_lg_u32 s33, 0
	s_mul_hi_u32 s2, s6, s26
	v_not_b32_e32 v3, v12
	s_cselect_b64 s[38:39], -1, 0
	s_add_i32 s2, s2, s5
	s_mul_i32 s3, s7, s26
	v_cndmask_b32_e32 v1, 0, v1, vcc
	v_add_co_u32_e32 v0, vcc, v3, v0
	s_add_i32 s3, s2, s3
	s_mul_i32 s2, s6, s26
	v_addc_co_u32_e32 v1, vcc, -1, v1, vcc
	s_mov_b64 s[6:7], 0x5f
	v_cmp_lt_u64_e64 s[6:7], s[6:7], v[0:1]
	v_lshrrev_b64 v[0:1], 5, v[0:1]
	v_add_co_u32_e32 v6, vcc, 1, v0
	s_lshl_b64 s[2:3], s[2:3], 2
	v_addc_co_u32_e32 v7, vcc, 0, v1, vcc
	s_add_u32 s50, s8, s2
	v_and_b32_e32 v14, -4, v6
	v_mov_b32_e32 v15, v7
	s_addc_u32 s51, s9, s3
	v_cmp_ne_u64_e64 s[8:9], v[6:7], v[14:15]
	v_mov_b32_e32 v6, s29
	v_add_co_u32_e32 v7, vcc, s28, v12
	v_addc_co_u32_e32 v6, vcc, 0, v6, vcc
	v_add_co_u32_e32 v30, vcc, 64, v7
	s_cmp_eq_u32 s4, 0
	v_addc_co_u32_e32 v31, vcc, 0, v6, vcc
	s_mul_i32 s12, s27, s34
	s_mul_i32 s13, s26, s35
	v_mov_b32_e32 v6, s34
	s_cselect_b64 s[2:3], -1, 0
	s_add_i32 s14, s13, s12
	v_mad_u64_u32 v[6:7], s[12:13], s26, v6, v[10:11]
	v_mad_u64_u32 v[18:19], s[12:13], s26, v6, 0
	v_add_u32_e32 v7, s14, v7
	s_mul_i32 s12, s26, s27
	s_mul_hi_u32 s13, s26, s26
	v_mov_b32_e32 v13, v11
	v_lshlrev_b64 v[16:17], 5, v[14:15]
	v_mul_lo_u32 v7, s26, v7
	v_mul_lo_u32 v8, s27, v6
	s_add_i32 s13, s13, s12
	s_mov_b64 s[30:31], 0
	v_cmp_gt_u64_e64 s[0:1], s[26:27], v[12:13]
	v_cmp_eq_u32_e64 s[4:5], 31, v12
	v_or_b32_e32 v16, v16, v12
	v_mov_b32_e32 v0, v12
	v_mov_b32_e32 v1, v11
	;; [unrolled: 1-line block ×3, first 2 shown]
	s_mov_b32 s52, s26
	s_mov_b32 s53, s27
	v_add3_u32 v19, v19, v7, v8
	s_lshl_b64 s[40:41], s[26:27], 5
	s_add_i32 s54, s13, s12
	s_mul_i32 s55, s26, s26
	v_cmp_lt_i64_e64 s[10:11], s[10:11], v[4:5]
	s_movk_i32 s56, 0x80
	s_branch .LBB44_14
.LBB44_13:                              ;   in Loop: Header=BB44_14 Depth=1
	s_or_b64 exec, exec, s[12:13]
	v_add_co_u32_e32 v10, vcc, 32, v10
	v_addc_co_u32_e32 v11, vcc, 0, v11, vcc
	v_cmp_le_i64_e32 vcc, s[26:27], v[10:11]
	v_mov_b32_e32 v4, s41
	s_or_b64 s[30:31], vcc, s[30:31]
	v_add_co_u32_e32 v18, vcc, s40, v18
	v_addc_co_u32_e32 v19, vcc, v19, v4, vcc
	s_andn2_b64 exec, exec, s[30:31]
	s_cbranch_execz .LBB44_36
.LBB44_14:                              ; =>This Loop Header: Depth=1
                                        ;     Child Loop BB44_19 Depth 2
                                        ;       Child Loop BB44_22 Depth 3
                                        ;       Child Loop BB44_27 Depth 3
	s_andn2_b64 vcc, exec, s[10:11]
	v_mov_b32_e32 v32, 0
	s_cbranch_vccnz .LBB44_31
; %bb.15:                               ;   in Loop: Header=BB44_14 Depth=1
	v_mov_b32_e32 v20, v10
	v_mov_b32_e32 v21, v11
	;; [unrolled: 1-line block ×3, first 2 shown]
	v_pk_mov_b32 v[22:23], v[18:19], v[18:19] op_sel:[0,1]
	s_mov_b64 s[42:43], s[34:35]
	s_branch .LBB44_19
.LBB44_16:                              ;   in Loop: Header=BB44_19 Depth=2
	s_or_b64 exec, exec, s[14:15]
.LBB44_17:                              ;   in Loop: Header=BB44_19 Depth=2
	s_or_b64 exec, exec, s[12:13]
.LBB44_18:                              ;   in Loop: Header=BB44_19 Depth=2
	s_or_b64 exec, exec, s[44:45]
	s_add_u32 s42, s42, 1
	v_mov_b32_e32 v4, s54
	v_add_co_u32_e32 v22, vcc, s55, v22
	s_addc_u32 s43, s43, 0
	v_addc_co_u32_e32 v23, vcc, v23, v4, vcc
	v_pk_mov_b32 v[4:5], s[18:19], s[18:19] op_sel:[0,1]
	v_cmp_ge_i64_e32 vcc, s[42:43], v[4:5]
	s_cbranch_vccnz .LBB44_31
.LBB44_19:                              ;   Parent Loop BB44_14 Depth=1
                                        ; =>  This Loop Header: Depth=2
                                        ;       Child Loop BB44_22 Depth 3
                                        ;       Child Loop BB44_27 Depth 3
	s_and_saveexec_b64 s[44:45], s[0:1]
	s_cbranch_execz .LBB44_18
; %bb.20:                               ;   in Loop: Header=BB44_19 Depth=2
	s_lshl_b64 s[12:13], s[42:43], 3
	s_add_u32 s12, s20, s12
	s_addc_u32 s13, s21, s13
	s_load_dwordx2 s[12:13], s[12:13], 0x0
	s_mul_i32 s14, s42, s27
	s_mul_hi_u32 s15, s42, s26
	s_mul_i32 s16, s43, s26
	s_mul_i32 s58, s42, s26
	s_waitcnt lgkmcnt(0)
	s_sub_u32 s60, s12, s24
	s_subb_u32 s12, s13, 0
	s_add_i32 s13, s15, s14
	s_add_i32 s57, s13, s16
	s_mul_i32 s13, s60, s27
	s_mul_hi_u32 s14, s60, s26
	s_add_i32 s59, s14, s13
	s_mul_i32 s12, s12, s26
	s_add_i32 s59, s59, s12
	s_mul_i32 s60, s60, s26
	s_mov_b64 s[14:15], -1
	v_pk_mov_b32 v[4:5], v[12:13], v[12:13] op_sel:[0,1]
	s_and_saveexec_b64 s[46:47], s[6:7]
	s_cbranch_execz .LBB44_24
; %bb.21:                               ;   in Loop: Header=BB44_19 Depth=2
	v_mov_b32_e32 v4, s57
	v_add_co_u32_e32 v5, vcc, s58, v10
	v_addc_co_u32_e32 v4, vcc, v4, v11, vcc
	v_mul_lo_u32 v4, v4, s26
	v_mul_lo_u32 v6, v5, s27
	v_mad_u64_u32 v[24:25], s[12:13], v5, s26, 0
	v_add3_u32 v25, v25, v6, v4
	v_mov_b32_e32 v6, s59
	v_add_co_u32_e32 v26, vcc, s60, v30
	v_addc_co_u32_e32 v27, vcc, v31, v6, vcc
	v_pk_mov_b32 v[8:9], v[2:3], v[2:3] op_sel:[0,1]
	s_mov_b32 s61, s58
	s_mov_b32 s62, s57
	v_mov_b32_e32 v4, v24
	v_mov_b32_e32 v5, v25
	s_mov_b64 s[48:49], 0
	v_mov_b32_e32 v33, 0
	v_pk_mov_b32 v[28:29], v[14:15], v[14:15] op_sel:[0,1]
	v_pk_mov_b32 v[6:7], v[0:1], v[0:1] op_sel:[0,1]
	v_mov_b32_e32 v34, 0
	v_mov_b32_e32 v35, 0
.LBB44_22:                              ;   Parent Loop BB44_14 Depth=1
                                        ;     Parent Loop BB44_19 Depth=2
                                        ; =>    This Inner Loop Header: Depth=3
	v_add_co_u32_e32 v40, vcc, 64, v6
	v_addc_co_u32_e32 v41, vcc, 0, v7, vcc
	v_add_co_u32_e32 v42, vcc, 64, v8
	v_addc_co_u32_e32 v43, vcc, 0, v9, vcc
	v_mov_b32_e32 v37, s57
	v_add_co_u32_e32 v38, vcc, s58, v6
	v_add_co_u32_e64 v45, s[12:13], v6, v24
	v_addc_co_u32_e32 v56, vcc, v7, v37, vcc
	v_mov_b32_e32 v39, s62
	v_addc_co_u32_e64 v46, s[12:13], v7, v25, s[12:13]
	v_add_co_u32_e32 v57, vcc, s61, v42
	v_add_co_u32_e64 v47, s[12:13], v8, v4
	v_addc_co_u32_e32 v58, vcc, v43, v39, vcc
	v_mov_b32_e32 v44, s57
	v_addc_co_u32_e64 v48, s[12:13], v9, v5, s[12:13]
	v_add_co_u32_e32 v59, vcc, s58, v40
	v_mov_b32_e32 v36, s62
	v_add_co_u32_e64 v54, s[12:13], s61, v8
	v_addc_co_u32_e32 v44, vcc, v41, v44, vcc
	v_addc_co_u32_e64 v55, s[12:13], v9, v36, s[12:13]
	v_mul_lo_u32 v60, v38, s27
	v_mad_u64_u32 v[36:37], s[12:13], v38, s26, v[10:11]
	v_mul_lo_u32 v61, v54, s53
	v_mad_u64_u32 v[38:39], s[12:13], v54, s52, v[20:21]
	v_add_co_u32_e32 v54, vcc, v40, v24
	v_addc_co_u32_e32 v62, vcc, v41, v25, vcc
	v_add_co_u32_e32 v63, vcc, v42, v4
	v_mul_lo_u32 v56, v56, s26
	v_mul_lo_u32 v55, v55, s52
	v_addc_co_u32_e32 v64, vcc, v43, v5, vcc
	v_mul_lo_u32 v65, v59, s27
	v_mul_lo_u32 v44, v44, s26
	v_mad_u64_u32 v[40:41], s[12:13], v59, s26, v[10:11]
	v_mul_lo_u32 v59, v57, s53
	v_mul_lo_u32 v58, v58, s52
	v_mad_u64_u32 v[42:43], s[12:13], v57, s52, v[20:21]
	v_cndmask_b32_e64 v38, v38, v47, s[2:3]
	v_cndmask_b32_e64 v45, v36, v45, s[2:3]
	v_add3_u32 v36, v56, v37, v60
	v_add3_u32 v37, v55, v39, v61
	v_mov_b32_e32 v49, s23
	v_add3_u32 v39, v44, v41, v65
	v_add3_u32 v41, v58, v43, v59
	v_cndmask_b32_e64 v42, v42, v63, s[2:3]
	v_cndmask_b32_e64 v40, v40, v54, s[2:3]
	;; [unrolled: 1-line block ×4, first 2 shown]
	v_add_co_u32_e32 v36, vcc, s22, v38
	v_cndmask_b32_e64 v41, v41, v64, s[2:3]
	v_cndmask_b32_e64 v39, v39, v62, s[2:3]
	v_add_co_u32_e64 v38, s[12:13], s22, v40
	v_add_co_u32_e64 v40, s[14:15], s22, v42
	;; [unrolled: 1-line block ×3, first 2 shown]
	v_addc_co_u32_e32 v37, vcc, v49, v37, vcc
	global_load_sbyte v50, v[26:27], off offset:-64
	global_load_sbyte v51, v[26:27], off offset:-32
	global_load_sbyte v52, v[26:27], off
	global_load_sbyte v53, v[26:27], off offset:32
	v_addc_co_u32_e64 v43, s[16:17], v49, v43, s[16:17]
	v_addc_co_u32_e64 v39, vcc, v49, v39, s[12:13]
	v_addc_co_u32_e64 v41, vcc, v49, v41, s[14:15]
	global_load_sbyte v36, v[36:37], off
	s_nop 0
	global_load_sbyte v37, v[42:43], off
	s_nop 0
	global_load_sbyte v40, v[40:41], off
	s_nop 0
	global_load_sbyte v38, v[38:39], off
	v_add_co_u32_e32 v8, vcc, s56, v8
	v_addc_co_u32_e32 v9, vcc, 0, v9, vcc
	v_add_co_u32_e64 v28, s[12:13], -4, v28
	v_add_co_u32_e32 v6, vcc, s56, v6
	v_addc_co_u32_e64 v29, s[12:13], -1, v29, s[12:13]
	v_addc_co_u32_e32 v7, vcc, 0, v7, vcc
	v_cmp_eq_u64_e64 s[12:13], 0, v[28:29]
	v_add_co_u32_e32 v26, vcc, 0x80, v26
	s_or_b64 s[48:49], s[12:13], s[48:49]
	v_addc_co_u32_e32 v27, vcc, 0, v27, vcc
	s_waitcnt vmcnt(3)
	v_mad_i32_i24 v33, v51, v36, v33
	s_waitcnt vmcnt(2)
	v_mad_i32_i24 v32, v50, v37, v32
	;; [unrolled: 2-line block ×4, first 2 shown]
	s_andn2_b64 exec, exec, s[48:49]
	s_cbranch_execnz .LBB44_22
; %bb.23:                               ;   in Loop: Header=BB44_19 Depth=2
	s_or_b64 exec, exec, s[48:49]
	v_add_u32_e32 v4, v35, v33
	v_add3_u32 v32, v34, v32, v4
	s_orn2_b64 s[14:15], s[8:9], exec
	v_pk_mov_b32 v[4:5], v[16:17], v[16:17] op_sel:[0,1]
.LBB44_24:                              ;   in Loop: Header=BB44_19 Depth=2
	s_or_b64 exec, exec, s[46:47]
	s_and_saveexec_b64 s[12:13], s[14:15]
	s_cbranch_execz .LBB44_17
; %bb.25:                               ;   in Loop: Header=BB44_19 Depth=2
	s_add_u32 s46, s28, s60
	s_addc_u32 s47, s29, s59
	s_mov_b64 s[14:15], 0
	s_branch .LBB44_27
.LBB44_26:                              ;   in Loop: Header=BB44_27 Depth=3
	v_mov_b32_e32 v8, s23
	v_add_co_u32_e32 v6, vcc, s22, v6
	v_addc_co_u32_e32 v7, vcc, v8, v7, vcc
	global_load_sbyte v8, v[6:7], off
	v_mov_b32_e32 v7, s47
	v_add_co_u32_e32 v6, vcc, s46, v4
	v_addc_co_u32_e32 v7, vcc, v7, v5, vcc
	global_load_sbyte v6, v[6:7], off
	v_add_co_u32_e32 v4, vcc, 32, v4
	v_addc_co_u32_e32 v5, vcc, 0, v5, vcc
	v_cmp_le_i64_e32 vcc, s[26:27], v[4:5]
	s_or_b64 s[14:15], vcc, s[14:15]
	s_waitcnt vmcnt(0)
	v_mad_i32_i24 v32, v6, v8, v32
	s_andn2_b64 exec, exec, s[14:15]
	s_cbranch_execz .LBB44_16
.LBB44_27:                              ;   Parent Loop BB44_14 Depth=1
                                        ;     Parent Loop BB44_19 Depth=2
                                        ; =>    This Inner Loop Header: Depth=3
	s_and_b64 vcc, exec, s[36:37]
	s_cbranch_vccz .LBB44_29
; %bb.28:                               ;   in Loop: Header=BB44_27 Depth=3
	v_mov_b32_e32 v6, s57
	v_add_co_u32_e32 v7, vcc, s58, v4
	v_addc_co_u32_e32 v6, vcc, v5, v6, vcc
	v_mul_lo_u32 v8, v7, s27
	v_mul_lo_u32 v9, v6, s26
	v_mad_u64_u32 v[6:7], s[16:17], v7, s26, v[10:11]
	v_add3_u32 v7, v9, v7, v8
	s_cbranch_execnz .LBB44_26
	s_branch .LBB44_30
.LBB44_29:                              ;   in Loop: Header=BB44_27 Depth=3
                                        ; implicit-def: $vgpr6_vgpr7
.LBB44_30:                              ;   in Loop: Header=BB44_27 Depth=3
	v_add_co_u32_e32 v6, vcc, v22, v4
	v_addc_co_u32_e32 v7, vcc, v23, v5, vcc
	s_branch .LBB44_26
.LBB44_31:                              ;   in Loop: Header=BB44_14 Depth=1
	s_nop 0
	v_mov_b32_dpp v4, v32 row_shr:1 row_mask:0xf bank_mask:0xf
	v_add_u32_e32 v4, v4, v32
	s_nop 1
	v_mov_b32_dpp v5, v4 row_shr:2 row_mask:0xf bank_mask:0xf
	v_add_u32_e32 v4, v4, v5
	;; [unrolled: 3-line block ×4, first 2 shown]
	s_nop 1
	v_mov_b32_dpp v5, v4 row_bcast:15 row_mask:0xa bank_mask:0xf
	s_and_saveexec_b64 s[12:13], s[4:5]
	s_cbranch_execz .LBB44_13
; %bb.32:                               ;   in Loop: Header=BB44_14 Depth=1
	v_add_u32_e32 v4, v4, v5
	s_andn2_b64 vcc, exec, s[38:39]
	v_lshlrev_b64 v[6:7], 2, v[10:11]
	v_mul_lo_u32 v4, v4, s25
	s_cbranch_vccnz .LBB44_34
; %bb.33:                               ;   in Loop: Header=BB44_14 Depth=1
	v_mov_b32_e32 v5, s51
	v_add_co_u32_e32 v8, vcc, s50, v6
	v_addc_co_u32_e32 v9, vcc, v5, v7, vcc
	global_load_dword v5, v[8:9], off
	s_waitcnt vmcnt(0)
	v_mad_u64_u32 v[20:21], s[14:15], v5, s33, v[4:5]
	global_store_dword v[8:9], v20, off
	s_cbranch_execnz .LBB44_13
	s_branch .LBB44_35
.LBB44_34:                              ;   in Loop: Header=BB44_14 Depth=1
.LBB44_35:                              ;   in Loop: Header=BB44_14 Depth=1
	v_mov_b32_e32 v5, s51
	v_add_co_u32_e32 v6, vcc, s50, v6
	v_addc_co_u32_e32 v7, vcc, v5, v7, vcc
	global_store_dword v[6:7], v4, off
	s_branch .LBB44_13
.LBB44_36:
	s_endpgm
	.section	.rodata,"a",@progbits
	.p2align	6, 0x0
	.amdhsa_kernel _ZN9rocsparseL22bsrxmvn_general_kernelILj1024ELj32EillaaiEEv20rocsparse_direction_NS_24const_host_device_scalarIT1_EET3_PKS5_PKT2_SA_S7_PKT4_S5_PKT5_S4_PT6_21rocsparse_index_base_b
		.amdhsa_group_segment_fixed_size 0
		.amdhsa_private_segment_fixed_size 0
		.amdhsa_kernarg_size 104
		.amdhsa_user_sgpr_count 6
		.amdhsa_user_sgpr_private_segment_buffer 1
		.amdhsa_user_sgpr_dispatch_ptr 0
		.amdhsa_user_sgpr_queue_ptr 0
		.amdhsa_user_sgpr_kernarg_segment_ptr 1
		.amdhsa_user_sgpr_dispatch_id 0
		.amdhsa_user_sgpr_flat_scratch_init 0
		.amdhsa_user_sgpr_kernarg_preload_length 0
		.amdhsa_user_sgpr_kernarg_preload_offset 0
		.amdhsa_user_sgpr_private_segment_size 0
		.amdhsa_uses_dynamic_stack 0
		.amdhsa_system_sgpr_private_segment_wavefront_offset 0
		.amdhsa_system_sgpr_workgroup_id_x 1
		.amdhsa_system_sgpr_workgroup_id_y 0
		.amdhsa_system_sgpr_workgroup_id_z 0
		.amdhsa_system_sgpr_workgroup_info 0
		.amdhsa_system_vgpr_workitem_id 0
		.amdhsa_next_free_vgpr 66
		.amdhsa_next_free_sgpr 63
		.amdhsa_accum_offset 68
		.amdhsa_reserve_vcc 1
		.amdhsa_reserve_flat_scratch 0
		.amdhsa_float_round_mode_32 0
		.amdhsa_float_round_mode_16_64 0
		.amdhsa_float_denorm_mode_32 3
		.amdhsa_float_denorm_mode_16_64 3
		.amdhsa_dx10_clamp 1
		.amdhsa_ieee_mode 1
		.amdhsa_fp16_overflow 0
		.amdhsa_tg_split 0
		.amdhsa_exception_fp_ieee_invalid_op 0
		.amdhsa_exception_fp_denorm_src 0
		.amdhsa_exception_fp_ieee_div_zero 0
		.amdhsa_exception_fp_ieee_overflow 0
		.amdhsa_exception_fp_ieee_underflow 0
		.amdhsa_exception_fp_ieee_inexact 0
		.amdhsa_exception_int_div_zero 0
	.end_amdhsa_kernel
	.section	.text._ZN9rocsparseL22bsrxmvn_general_kernelILj1024ELj32EillaaiEEv20rocsparse_direction_NS_24const_host_device_scalarIT1_EET3_PKS5_PKT2_SA_S7_PKT4_S5_PKT5_S4_PT6_21rocsparse_index_base_b,"axG",@progbits,_ZN9rocsparseL22bsrxmvn_general_kernelILj1024ELj32EillaaiEEv20rocsparse_direction_NS_24const_host_device_scalarIT1_EET3_PKS5_PKT2_SA_S7_PKT4_S5_PKT5_S4_PT6_21rocsparse_index_base_b,comdat
.Lfunc_end44:
	.size	_ZN9rocsparseL22bsrxmvn_general_kernelILj1024ELj32EillaaiEEv20rocsparse_direction_NS_24const_host_device_scalarIT1_EET3_PKS5_PKT2_SA_S7_PKT4_S5_PKT5_S4_PT6_21rocsparse_index_base_b, .Lfunc_end44-_ZN9rocsparseL22bsrxmvn_general_kernelILj1024ELj32EillaaiEEv20rocsparse_direction_NS_24const_host_device_scalarIT1_EET3_PKS5_PKT2_SA_S7_PKT4_S5_PKT5_S4_PT6_21rocsparse_index_base_b
                                        ; -- End function
	.section	.AMDGPU.csdata,"",@progbits
; Kernel info:
; codeLenInByte = 2004
; NumSgprs: 67
; NumVgprs: 66
; NumAgprs: 0
; TotalNumVgprs: 66
; ScratchSize: 0
; MemoryBound: 0
; FloatMode: 240
; IeeeMode: 1
; LDSByteSize: 0 bytes/workgroup (compile time only)
; SGPRBlocks: 8
; VGPRBlocks: 8
; NumSGPRsForWavesPerEU: 67
; NumVGPRsForWavesPerEU: 66
; AccumOffset: 68
; Occupancy: 7
; WaveLimiterHint : 1
; COMPUTE_PGM_RSRC2:SCRATCH_EN: 0
; COMPUTE_PGM_RSRC2:USER_SGPR: 6
; COMPUTE_PGM_RSRC2:TRAP_HANDLER: 0
; COMPUTE_PGM_RSRC2:TGID_X_EN: 1
; COMPUTE_PGM_RSRC2:TGID_Y_EN: 0
; COMPUTE_PGM_RSRC2:TGID_Z_EN: 0
; COMPUTE_PGM_RSRC2:TIDIG_COMP_CNT: 0
; COMPUTE_PGM_RSRC3_GFX90A:ACCUM_OFFSET: 16
; COMPUTE_PGM_RSRC3_GFX90A:TG_SPLIT: 0
	.section	.text._ZN9rocsparseL22bsrxmvn_general_kernelILj64ELj8EfiiaafEEv20rocsparse_direction_NS_24const_host_device_scalarIT1_EET3_PKS5_PKT2_SA_S7_PKT4_S5_PKT5_S4_PT6_21rocsparse_index_base_b,"axG",@progbits,_ZN9rocsparseL22bsrxmvn_general_kernelILj64ELj8EfiiaafEEv20rocsparse_direction_NS_24const_host_device_scalarIT1_EET3_PKS5_PKT2_SA_S7_PKT4_S5_PKT5_S4_PT6_21rocsparse_index_base_b,comdat
	.globl	_ZN9rocsparseL22bsrxmvn_general_kernelILj64ELj8EfiiaafEEv20rocsparse_direction_NS_24const_host_device_scalarIT1_EET3_PKS5_PKT2_SA_S7_PKT4_S5_PKT5_S4_PT6_21rocsparse_index_base_b ; -- Begin function _ZN9rocsparseL22bsrxmvn_general_kernelILj64ELj8EfiiaafEEv20rocsparse_direction_NS_24const_host_device_scalarIT1_EET3_PKS5_PKT2_SA_S7_PKT4_S5_PKT5_S4_PT6_21rocsparse_index_base_b
	.p2align	8
	.type	_ZN9rocsparseL22bsrxmvn_general_kernelILj64ELj8EfiiaafEEv20rocsparse_direction_NS_24const_host_device_scalarIT1_EET3_PKS5_PKT2_SA_S7_PKT4_S5_PKT5_S4_PT6_21rocsparse_index_base_b,@function
_ZN9rocsparseL22bsrxmvn_general_kernelILj64ELj8EfiiaafEEv20rocsparse_direction_NS_24const_host_device_scalarIT1_EET3_PKS5_PKT2_SA_S7_PKT4_S5_PKT5_S4_PT6_21rocsparse_index_base_b: ; @_ZN9rocsparseL22bsrxmvn_general_kernelILj64ELj8EfiiaafEEv20rocsparse_direction_NS_24const_host_device_scalarIT1_EET3_PKS5_PKT2_SA_S7_PKT4_S5_PKT5_S4_PT6_21rocsparse_index_base_b
; %bb.0:
	s_load_dwordx2 s[16:17], s[4:5], 0x60
	s_load_dwordx2 s[18:19], s[4:5], 0x8
	;; [unrolled: 1-line block ×3, first 2 shown]
	s_waitcnt lgkmcnt(0)
	s_bitcmp1_b32 s17, 0
	s_cselect_b64 s[2:3], -1, 0
	s_xor_b64 s[0:1], s[2:3], -1
	s_and_b64 vcc, exec, s[2:3]
	s_cbranch_vccnz .LBB45_2
; %bb.1:
	s_load_dword s18, s[18:19], 0x0
.LBB45_2:
	s_andn2_b64 vcc, exec, s[0:1]
	s_cbranch_vccnz .LBB45_4
; %bb.3:
	s_load_dword s20, s[20:21], 0x0
.LBB45_4:
	s_waitcnt lgkmcnt(0)
	v_cmp_neq_f32_e64 s[0:1], s18, 0
	v_cmp_neq_f32_e64 s[2:3], s20, 1.0
	s_or_b64 s[0:1], s[0:1], s[2:3]
	s_andn2_b64 vcc, exec, s[0:1]
	s_cbranch_vccnz .LBB45_26
; %bb.5:
	s_load_dwordx2 s[0:1], s[4:5], 0x18
	s_waitcnt lgkmcnt(0)
	s_cmp_eq_u64 s[0:1], 0
	s_cbranch_scc1 .LBB45_7
; %bb.6:
	s_ashr_i32 s7, s6, 31
	s_lshl_b64 s[2:3], s[6:7], 2
	s_add_u32 s0, s0, s2
	s_addc_u32 s1, s1, s3
	s_load_dword s0, s[0:1], 0x0
	s_waitcnt lgkmcnt(0)
	s_sub_i32 s6, s0, s16
.LBB45_7:
	s_load_dword s17, s[4:5], 0x40
	v_lshrrev_b32_e32 v2, 3, v0
	s_waitcnt lgkmcnt(0)
	v_cmp_gt_i32_e32 vcc, s17, v2
	s_and_saveexec_b64 s[0:1], vcc
	s_cbranch_execz .LBB45_26
; %bb.8:
	s_load_dwordx8 s[8:15], s[4:5], 0x20
	s_ashr_i32 s7, s6, 31
	s_lshl_b64 s[0:1], s[6:7], 2
	s_mul_hi_u32 s21, s17, s17
	s_mul_i32 s33, s17, s17
	s_waitcnt lgkmcnt(0)
	s_add_u32 s2, s8, s0
	s_addc_u32 s3, s9, s1
	s_load_dword s7, s[2:3], 0x0
	s_load_dwordx2 s[8:9], s[4:5], 0x58
	s_load_dwordx2 s[22:23], s[4:5], 0x48
	s_mul_i32 s37, s6, s17
	v_and_b32_e32 v0, 7, v0
	s_waitcnt lgkmcnt(0)
	s_sub_i32 s19, s7, s16
	s_add_u32 s2, s2, 4
	s_addc_u32 s3, s3, 0
	s_add_u32 s0, s10, s0
	s_addc_u32 s1, s11, s1
	s_cmp_eq_u64 s[10:11], 0
	s_cselect_b32 s1, s3, s1
	s_cselect_b32 s0, s2, s0
	s_load_dword s2, s[0:1], 0x0
	s_load_dword s3, s[4:5], 0x0
	s_mul_hi_u32 s28, s19, s33
	s_mov_b64 s[24:25], 0
	v_cmp_gt_u32_e64 s[0:1], s17, v0
	s_waitcnt lgkmcnt(0)
	s_sub_i32 s36, s2, s16
	s_cmp_lt_i32 s7, s2
	s_cselect_b64 s[4:5], -1, 0
	s_cmp_lg_u32 s3, 0
	s_cselect_b64 s[10:11], -1, 0
	s_ashr_i32 s6, s19, 31
	s_mul_i32 s7, s19, s21
	s_add_i32 s7, s28, s7
	s_mul_i32 s6, s6, s33
	v_cndmask_b32_e64 v3, 0, 1, s[4:5]
	v_cmp_eq_u32_e64 s[2:3], 7, v0
	v_cmp_eq_f32_e64 s[26:27], s20, 0
	s_add_i32 s38, s7, s6
	s_mul_i32 s39, s19, s33
	v_mul_lo_u32 v12, s17, v2
	s_lshl_b32 s40, s17, 3
	v_mov_b32_e32 v1, 0
	v_mul_lo_u32 v13, s17, v0
	v_cmp_ne_u32_e64 s[4:5], 1, v3
	s_branch .LBB45_10
.LBB45_9:                               ;   in Loop: Header=BB45_10 Depth=1
	s_or_b64 exec, exec, s[6:7]
	v_add_u32_e32 v2, 8, v2
	v_cmp_le_i32_e32 vcc, s17, v2
	s_or_b64 s[24:25], vcc, s[24:25]
	v_add_u32_e32 v12, s40, v12
	s_andn2_b64 exec, exec, s[24:25]
	s_cbranch_execz .LBB45_26
.LBB45_10:                              ; =>This Loop Header: Depth=1
                                        ;     Child Loop BB45_14 Depth 2
                                        ;       Child Loop BB45_17 Depth 3
	s_and_b64 vcc, exec, s[4:5]
	v_mov_b32_e32 v14, 0
	s_cbranch_vccnz .LBB45_21
; %bb.11:                               ;   in Loop: Header=BB45_10 Depth=1
	v_ashrrev_i32_e32 v3, 31, v12
	v_mov_b32_e32 v5, s38
	v_add_co_u32_e32 v4, vcc, s39, v12
	v_addc_co_u32_e32 v5, vcc, v5, v3, vcc
	v_ashrrev_i32_e32 v3, 31, v2
	v_mov_b32_e32 v14, 0
	s_mov_b32 s6, s19
	s_branch .LBB45_14
.LBB45_12:                              ;   in Loop: Header=BB45_14 Depth=2
	s_or_b64 exec, exec, s[30:31]
.LBB45_13:                              ;   in Loop: Header=BB45_14 Depth=2
	s_or_b64 exec, exec, s[28:29]
	s_add_i32 s6, s6, 1
	v_mov_b32_e32 v6, s21
	v_add_co_u32_e32 v4, vcc, s33, v4
	s_cmp_ge_i32 s6, s36
	v_addc_co_u32_e32 v5, vcc, v5, v6, vcc
	s_cbranch_scc1 .LBB45_21
.LBB45_14:                              ;   Parent Loop BB45_10 Depth=1
                                        ; =>  This Loop Header: Depth=2
                                        ;       Child Loop BB45_17 Depth 3
	s_and_saveexec_b64 s[28:29], s[0:1]
	s_cbranch_execz .LBB45_13
; %bb.15:                               ;   in Loop: Header=BB45_14 Depth=2
	s_ashr_i32 s7, s6, 31
	s_lshl_b64 s[30:31], s[6:7], 2
	s_add_u32 s30, s12, s30
	s_addc_u32 s31, s13, s31
	s_load_dword s30, s[30:31], 0x0
	s_mul_i32 s31, s21, s6
	v_mov_b32_e32 v6, s6
	s_mul_i32 s7, s33, s7
	s_add_i32 s7, s7, s31
	s_waitcnt lgkmcnt(0)
	s_sub_i32 s34, s30, s16
	v_mad_u64_u32 v[6:7], s[30:31], s33, v6, v[2:3]
	v_add_u32_e32 v7, s7, v7
	s_mul_i32 s7, s34, s17
	s_mov_b64 s[30:31], 0
	v_mov_b32_e32 v15, v13
	v_pk_mov_b32 v[8:9], v[0:1], v[0:1] op_sel:[0,1]
	s_branch .LBB45_17
.LBB45_16:                              ;   in Loop: Header=BB45_17 Depth=3
	v_mov_b32_e32 v16, s15
	v_add_co_u32_e32 v10, vcc, s14, v10
	v_addc_co_u32_e32 v11, vcc, v16, v11, vcc
	global_load_sbyte v16, v[10:11], off
	v_add_u32_e32 v10, s7, v8
	v_ashrrev_i32_e32 v11, 31, v10
	v_mov_b32_e32 v17, s23
	v_add_co_u32_e32 v10, vcc, s22, v10
	v_addc_co_u32_e32 v11, vcc, v17, v11, vcc
	global_load_sbyte v10, v[10:11], off
	v_add_co_u32_e32 v8, vcc, 8, v8
	v_addc_co_u32_e32 v9, vcc, 0, v9, vcc
	v_cmp_le_i32_e32 vcc, s17, v8
	s_or_b64 s[30:31], vcc, s[30:31]
	v_add_u32_e32 v15, s40, v15
	s_waitcnt vmcnt(1)
	v_cvt_f32_i32_e32 v11, v16
	s_waitcnt vmcnt(0)
	v_cvt_f32_i32_e32 v10, v10
	v_fmac_f32_e32 v14, v11, v10
	s_andn2_b64 exec, exec, s[30:31]
	s_cbranch_execz .LBB45_12
.LBB45_17:                              ;   Parent Loop BB45_10 Depth=1
                                        ;     Parent Loop BB45_14 Depth=2
                                        ; =>    This Inner Loop Header: Depth=3
	s_and_b64 vcc, exec, s[10:11]
	s_cbranch_vccz .LBB45_19
; %bb.18:                               ;   in Loop: Header=BB45_17 Depth=3
	v_ashrrev_i32_e32 v11, 31, v15
	v_add_co_u32_e32 v10, vcc, v6, v15
	v_addc_co_u32_e32 v11, vcc, v7, v11, vcc
	s_cbranch_execnz .LBB45_16
	s_branch .LBB45_20
.LBB45_19:                              ;   in Loop: Header=BB45_17 Depth=3
                                        ; implicit-def: $vgpr10_vgpr11
.LBB45_20:                              ;   in Loop: Header=BB45_17 Depth=3
	v_add_co_u32_e32 v10, vcc, v4, v8
	v_addc_co_u32_e32 v11, vcc, v5, v9, vcc
	s_branch .LBB45_16
.LBB45_21:                              ;   in Loop: Header=BB45_10 Depth=1
	s_nop 0
	v_mov_b32_dpp v3, v14 row_shr:1 row_mask:0xf bank_mask:0xf
	v_add_f32_e32 v3, v14, v3
	s_nop 1
	v_mov_b32_dpp v4, v3 row_shr:2 row_mask:0xf bank_mask:0xf
	v_add_f32_e32 v3, v3, v4
	s_nop 1
	v_mov_b32_dpp v4, v3 row_shr:4 row_mask:0xf bank_mask:0xe
	s_and_saveexec_b64 s[6:7], s[2:3]
	s_cbranch_execz .LBB45_9
; %bb.22:                               ;   in Loop: Header=BB45_10 Depth=1
	v_add_f32_e32 v3, v3, v4
	v_add_u32_e32 v4, s37, v2
	s_and_b64 vcc, exec, s[26:27]
	v_mul_f32_e32 v3, s18, v3
	v_ashrrev_i32_e32 v5, 31, v4
	s_cbranch_vccz .LBB45_24
; %bb.23:                               ;   in Loop: Header=BB45_10 Depth=1
	v_lshlrev_b64 v[6:7], 2, v[4:5]
	v_mov_b32_e32 v8, s9
	v_add_co_u32_e32 v6, vcc, s8, v6
	v_addc_co_u32_e32 v7, vcc, v8, v7, vcc
	global_store_dword v[6:7], v3, off
	s_cbranch_execnz .LBB45_9
	s_branch .LBB45_25
.LBB45_24:                              ;   in Loop: Header=BB45_10 Depth=1
.LBB45_25:                              ;   in Loop: Header=BB45_10 Depth=1
	v_lshlrev_b64 v[4:5], 2, v[4:5]
	v_mov_b32_e32 v6, s9
	v_add_co_u32_e32 v4, vcc, s8, v4
	v_addc_co_u32_e32 v5, vcc, v6, v5, vcc
	global_load_dword v6, v[4:5], off
	s_waitcnt vmcnt(0)
	v_fmac_f32_e32 v3, s20, v6
	global_store_dword v[4:5], v3, off
	s_branch .LBB45_9
.LBB45_26:
	s_endpgm
	.section	.rodata,"a",@progbits
	.p2align	6, 0x0
	.amdhsa_kernel _ZN9rocsparseL22bsrxmvn_general_kernelILj64ELj8EfiiaafEEv20rocsparse_direction_NS_24const_host_device_scalarIT1_EET3_PKS5_PKT2_SA_S7_PKT4_S5_PKT5_S4_PT6_21rocsparse_index_base_b
		.amdhsa_group_segment_fixed_size 0
		.amdhsa_private_segment_fixed_size 0
		.amdhsa_kernarg_size 104
		.amdhsa_user_sgpr_count 6
		.amdhsa_user_sgpr_private_segment_buffer 1
		.amdhsa_user_sgpr_dispatch_ptr 0
		.amdhsa_user_sgpr_queue_ptr 0
		.amdhsa_user_sgpr_kernarg_segment_ptr 1
		.amdhsa_user_sgpr_dispatch_id 0
		.amdhsa_user_sgpr_flat_scratch_init 0
		.amdhsa_user_sgpr_kernarg_preload_length 0
		.amdhsa_user_sgpr_kernarg_preload_offset 0
		.amdhsa_user_sgpr_private_segment_size 0
		.amdhsa_uses_dynamic_stack 0
		.amdhsa_system_sgpr_private_segment_wavefront_offset 0
		.amdhsa_system_sgpr_workgroup_id_x 1
		.amdhsa_system_sgpr_workgroup_id_y 0
		.amdhsa_system_sgpr_workgroup_id_z 0
		.amdhsa_system_sgpr_workgroup_info 0
		.amdhsa_system_vgpr_workitem_id 0
		.amdhsa_next_free_vgpr 18
		.amdhsa_next_free_sgpr 41
		.amdhsa_accum_offset 20
		.amdhsa_reserve_vcc 1
		.amdhsa_reserve_flat_scratch 0
		.amdhsa_float_round_mode_32 0
		.amdhsa_float_round_mode_16_64 0
		.amdhsa_float_denorm_mode_32 3
		.amdhsa_float_denorm_mode_16_64 3
		.amdhsa_dx10_clamp 1
		.amdhsa_ieee_mode 1
		.amdhsa_fp16_overflow 0
		.amdhsa_tg_split 0
		.amdhsa_exception_fp_ieee_invalid_op 0
		.amdhsa_exception_fp_denorm_src 0
		.amdhsa_exception_fp_ieee_div_zero 0
		.amdhsa_exception_fp_ieee_overflow 0
		.amdhsa_exception_fp_ieee_underflow 0
		.amdhsa_exception_fp_ieee_inexact 0
		.amdhsa_exception_int_div_zero 0
	.end_amdhsa_kernel
	.section	.text._ZN9rocsparseL22bsrxmvn_general_kernelILj64ELj8EfiiaafEEv20rocsparse_direction_NS_24const_host_device_scalarIT1_EET3_PKS5_PKT2_SA_S7_PKT4_S5_PKT5_S4_PT6_21rocsparse_index_base_b,"axG",@progbits,_ZN9rocsparseL22bsrxmvn_general_kernelILj64ELj8EfiiaafEEv20rocsparse_direction_NS_24const_host_device_scalarIT1_EET3_PKS5_PKT2_SA_S7_PKT4_S5_PKT5_S4_PT6_21rocsparse_index_base_b,comdat
.Lfunc_end45:
	.size	_ZN9rocsparseL22bsrxmvn_general_kernelILj64ELj8EfiiaafEEv20rocsparse_direction_NS_24const_host_device_scalarIT1_EET3_PKS5_PKT2_SA_S7_PKT4_S5_PKT5_S4_PT6_21rocsparse_index_base_b, .Lfunc_end45-_ZN9rocsparseL22bsrxmvn_general_kernelILj64ELj8EfiiaafEEv20rocsparse_direction_NS_24const_host_device_scalarIT1_EET3_PKS5_PKT2_SA_S7_PKT4_S5_PKT5_S4_PT6_21rocsparse_index_base_b
                                        ; -- End function
	.section	.AMDGPU.csdata,"",@progbits
; Kernel info:
; codeLenInByte = 924
; NumSgprs: 45
; NumVgprs: 18
; NumAgprs: 0
; TotalNumVgprs: 18
; ScratchSize: 0
; MemoryBound: 0
; FloatMode: 240
; IeeeMode: 1
; LDSByteSize: 0 bytes/workgroup (compile time only)
; SGPRBlocks: 5
; VGPRBlocks: 2
; NumSGPRsForWavesPerEU: 45
; NumVGPRsForWavesPerEU: 18
; AccumOffset: 20
; Occupancy: 8
; WaveLimiterHint : 1
; COMPUTE_PGM_RSRC2:SCRATCH_EN: 0
; COMPUTE_PGM_RSRC2:USER_SGPR: 6
; COMPUTE_PGM_RSRC2:TRAP_HANDLER: 0
; COMPUTE_PGM_RSRC2:TGID_X_EN: 1
; COMPUTE_PGM_RSRC2:TGID_Y_EN: 0
; COMPUTE_PGM_RSRC2:TGID_Z_EN: 0
; COMPUTE_PGM_RSRC2:TIDIG_COMP_CNT: 0
; COMPUTE_PGM_RSRC3_GFX90A:ACCUM_OFFSET: 4
; COMPUTE_PGM_RSRC3_GFX90A:TG_SPLIT: 0
	.section	.text._ZN9rocsparseL22bsrxmvn_general_kernelILj256ELj16EfiiaafEEv20rocsparse_direction_NS_24const_host_device_scalarIT1_EET3_PKS5_PKT2_SA_S7_PKT4_S5_PKT5_S4_PT6_21rocsparse_index_base_b,"axG",@progbits,_ZN9rocsparseL22bsrxmvn_general_kernelILj256ELj16EfiiaafEEv20rocsparse_direction_NS_24const_host_device_scalarIT1_EET3_PKS5_PKT2_SA_S7_PKT4_S5_PKT5_S4_PT6_21rocsparse_index_base_b,comdat
	.globl	_ZN9rocsparseL22bsrxmvn_general_kernelILj256ELj16EfiiaafEEv20rocsparse_direction_NS_24const_host_device_scalarIT1_EET3_PKS5_PKT2_SA_S7_PKT4_S5_PKT5_S4_PT6_21rocsparse_index_base_b ; -- Begin function _ZN9rocsparseL22bsrxmvn_general_kernelILj256ELj16EfiiaafEEv20rocsparse_direction_NS_24const_host_device_scalarIT1_EET3_PKS5_PKT2_SA_S7_PKT4_S5_PKT5_S4_PT6_21rocsparse_index_base_b
	.p2align	8
	.type	_ZN9rocsparseL22bsrxmvn_general_kernelILj256ELj16EfiiaafEEv20rocsparse_direction_NS_24const_host_device_scalarIT1_EET3_PKS5_PKT2_SA_S7_PKT4_S5_PKT5_S4_PT6_21rocsparse_index_base_b,@function
_ZN9rocsparseL22bsrxmvn_general_kernelILj256ELj16EfiiaafEEv20rocsparse_direction_NS_24const_host_device_scalarIT1_EET3_PKS5_PKT2_SA_S7_PKT4_S5_PKT5_S4_PT6_21rocsparse_index_base_b: ; @_ZN9rocsparseL22bsrxmvn_general_kernelILj256ELj16EfiiaafEEv20rocsparse_direction_NS_24const_host_device_scalarIT1_EET3_PKS5_PKT2_SA_S7_PKT4_S5_PKT5_S4_PT6_21rocsparse_index_base_b
; %bb.0:
	s_load_dwordx2 s[16:17], s[4:5], 0x60
	s_load_dwordx2 s[18:19], s[4:5], 0x8
	;; [unrolled: 1-line block ×3, first 2 shown]
	s_waitcnt lgkmcnt(0)
	s_bitcmp1_b32 s17, 0
	s_cselect_b64 s[2:3], -1, 0
	s_xor_b64 s[0:1], s[2:3], -1
	s_and_b64 vcc, exec, s[2:3]
	s_cbranch_vccnz .LBB46_2
; %bb.1:
	s_load_dword s18, s[18:19], 0x0
.LBB46_2:
	s_andn2_b64 vcc, exec, s[0:1]
	s_cbranch_vccnz .LBB46_4
; %bb.3:
	s_load_dword s20, s[20:21], 0x0
.LBB46_4:
	s_waitcnt lgkmcnt(0)
	v_cmp_neq_f32_e64 s[0:1], s18, 0
	v_cmp_neq_f32_e64 s[2:3], s20, 1.0
	s_or_b64 s[0:1], s[0:1], s[2:3]
	s_andn2_b64 vcc, exec, s[0:1]
	s_cbranch_vccnz .LBB46_26
; %bb.5:
	s_load_dwordx2 s[0:1], s[4:5], 0x18
	s_waitcnt lgkmcnt(0)
	s_cmp_eq_u64 s[0:1], 0
	s_cbranch_scc1 .LBB46_7
; %bb.6:
	s_ashr_i32 s7, s6, 31
	s_lshl_b64 s[2:3], s[6:7], 2
	s_add_u32 s0, s0, s2
	s_addc_u32 s1, s1, s3
	s_load_dword s0, s[0:1], 0x0
	s_waitcnt lgkmcnt(0)
	s_sub_i32 s6, s0, s16
.LBB46_7:
	s_load_dword s17, s[4:5], 0x40
	v_lshrrev_b32_e32 v2, 4, v0
	s_waitcnt lgkmcnt(0)
	v_cmp_gt_i32_e32 vcc, s17, v2
	s_and_saveexec_b64 s[0:1], vcc
	s_cbranch_execz .LBB46_26
; %bb.8:
	s_load_dwordx8 s[8:15], s[4:5], 0x20
	s_ashr_i32 s7, s6, 31
	s_lshl_b64 s[0:1], s[6:7], 2
	s_mul_hi_u32 s21, s17, s17
	s_mul_i32 s33, s17, s17
	s_waitcnt lgkmcnt(0)
	s_add_u32 s2, s8, s0
	s_addc_u32 s3, s9, s1
	s_load_dword s7, s[2:3], 0x0
	s_load_dwordx2 s[8:9], s[4:5], 0x58
	s_load_dwordx2 s[22:23], s[4:5], 0x48
	s_mul_i32 s37, s6, s17
	v_and_b32_e32 v0, 15, v0
	s_waitcnt lgkmcnt(0)
	s_sub_i32 s19, s7, s16
	s_add_u32 s2, s2, 4
	s_addc_u32 s3, s3, 0
	s_add_u32 s0, s10, s0
	s_addc_u32 s1, s11, s1
	s_cmp_eq_u64 s[10:11], 0
	s_cselect_b32 s1, s3, s1
	s_cselect_b32 s0, s2, s0
	s_load_dword s2, s[0:1], 0x0
	s_load_dword s3, s[4:5], 0x0
	s_mul_hi_u32 s28, s19, s33
	s_mov_b64 s[24:25], 0
	v_cmp_gt_u32_e64 s[0:1], s17, v0
	s_waitcnt lgkmcnt(0)
	s_sub_i32 s36, s2, s16
	s_cmp_lt_i32 s7, s2
	s_cselect_b64 s[4:5], -1, 0
	s_cmp_lg_u32 s3, 0
	s_cselect_b64 s[10:11], -1, 0
	s_ashr_i32 s6, s19, 31
	s_mul_i32 s7, s19, s21
	s_add_i32 s7, s28, s7
	s_mul_i32 s6, s6, s33
	v_cndmask_b32_e64 v3, 0, 1, s[4:5]
	v_cmp_eq_u32_e64 s[2:3], 15, v0
	v_cmp_eq_f32_e64 s[26:27], s20, 0
	s_add_i32 s38, s7, s6
	s_mul_i32 s39, s19, s33
	v_mul_lo_u32 v12, s17, v2
	s_lshl_b32 s40, s17, 4
	v_mov_b32_e32 v1, 0
	v_mul_lo_u32 v13, s17, v0
	v_cmp_ne_u32_e64 s[4:5], 1, v3
	s_branch .LBB46_10
.LBB46_9:                               ;   in Loop: Header=BB46_10 Depth=1
	s_or_b64 exec, exec, s[6:7]
	v_add_u32_e32 v2, 16, v2
	v_cmp_le_i32_e32 vcc, s17, v2
	s_or_b64 s[24:25], vcc, s[24:25]
	v_add_u32_e32 v12, s40, v12
	s_andn2_b64 exec, exec, s[24:25]
	s_cbranch_execz .LBB46_26
.LBB46_10:                              ; =>This Loop Header: Depth=1
                                        ;     Child Loop BB46_14 Depth 2
                                        ;       Child Loop BB46_17 Depth 3
	s_and_b64 vcc, exec, s[4:5]
	v_mov_b32_e32 v14, 0
	s_cbranch_vccnz .LBB46_21
; %bb.11:                               ;   in Loop: Header=BB46_10 Depth=1
	v_ashrrev_i32_e32 v3, 31, v12
	v_mov_b32_e32 v5, s38
	v_add_co_u32_e32 v4, vcc, s39, v12
	v_addc_co_u32_e32 v5, vcc, v5, v3, vcc
	v_ashrrev_i32_e32 v3, 31, v2
	v_mov_b32_e32 v14, 0
	s_mov_b32 s6, s19
	s_branch .LBB46_14
.LBB46_12:                              ;   in Loop: Header=BB46_14 Depth=2
	s_or_b64 exec, exec, s[30:31]
.LBB46_13:                              ;   in Loop: Header=BB46_14 Depth=2
	s_or_b64 exec, exec, s[28:29]
	s_add_i32 s6, s6, 1
	v_mov_b32_e32 v6, s21
	v_add_co_u32_e32 v4, vcc, s33, v4
	s_cmp_ge_i32 s6, s36
	v_addc_co_u32_e32 v5, vcc, v5, v6, vcc
	s_cbranch_scc1 .LBB46_21
.LBB46_14:                              ;   Parent Loop BB46_10 Depth=1
                                        ; =>  This Loop Header: Depth=2
                                        ;       Child Loop BB46_17 Depth 3
	s_and_saveexec_b64 s[28:29], s[0:1]
	s_cbranch_execz .LBB46_13
; %bb.15:                               ;   in Loop: Header=BB46_14 Depth=2
	s_ashr_i32 s7, s6, 31
	s_lshl_b64 s[30:31], s[6:7], 2
	s_add_u32 s30, s12, s30
	s_addc_u32 s31, s13, s31
	s_load_dword s30, s[30:31], 0x0
	s_mul_i32 s31, s21, s6
	v_mov_b32_e32 v6, s6
	s_mul_i32 s7, s33, s7
	s_add_i32 s7, s7, s31
	s_waitcnt lgkmcnt(0)
	s_sub_i32 s34, s30, s16
	v_mad_u64_u32 v[6:7], s[30:31], s33, v6, v[2:3]
	v_add_u32_e32 v7, s7, v7
	s_mul_i32 s7, s34, s17
	s_mov_b64 s[30:31], 0
	v_mov_b32_e32 v15, v13
	v_pk_mov_b32 v[8:9], v[0:1], v[0:1] op_sel:[0,1]
	s_branch .LBB46_17
.LBB46_16:                              ;   in Loop: Header=BB46_17 Depth=3
	v_mov_b32_e32 v16, s15
	v_add_co_u32_e32 v10, vcc, s14, v10
	v_addc_co_u32_e32 v11, vcc, v16, v11, vcc
	global_load_sbyte v16, v[10:11], off
	v_add_u32_e32 v10, s7, v8
	v_ashrrev_i32_e32 v11, 31, v10
	v_mov_b32_e32 v17, s23
	v_add_co_u32_e32 v10, vcc, s22, v10
	v_addc_co_u32_e32 v11, vcc, v17, v11, vcc
	global_load_sbyte v10, v[10:11], off
	v_add_co_u32_e32 v8, vcc, 16, v8
	v_addc_co_u32_e32 v9, vcc, 0, v9, vcc
	v_cmp_le_i32_e32 vcc, s17, v8
	s_or_b64 s[30:31], vcc, s[30:31]
	v_add_u32_e32 v15, s40, v15
	s_waitcnt vmcnt(1)
	v_cvt_f32_i32_e32 v11, v16
	s_waitcnt vmcnt(0)
	v_cvt_f32_i32_e32 v10, v10
	v_fmac_f32_e32 v14, v11, v10
	s_andn2_b64 exec, exec, s[30:31]
	s_cbranch_execz .LBB46_12
.LBB46_17:                              ;   Parent Loop BB46_10 Depth=1
                                        ;     Parent Loop BB46_14 Depth=2
                                        ; =>    This Inner Loop Header: Depth=3
	s_and_b64 vcc, exec, s[10:11]
	s_cbranch_vccz .LBB46_19
; %bb.18:                               ;   in Loop: Header=BB46_17 Depth=3
	v_ashrrev_i32_e32 v11, 31, v15
	v_add_co_u32_e32 v10, vcc, v6, v15
	v_addc_co_u32_e32 v11, vcc, v7, v11, vcc
	s_cbranch_execnz .LBB46_16
	s_branch .LBB46_20
.LBB46_19:                              ;   in Loop: Header=BB46_17 Depth=3
                                        ; implicit-def: $vgpr10_vgpr11
.LBB46_20:                              ;   in Loop: Header=BB46_17 Depth=3
	v_add_co_u32_e32 v10, vcc, v4, v8
	v_addc_co_u32_e32 v11, vcc, v5, v9, vcc
	s_branch .LBB46_16
.LBB46_21:                              ;   in Loop: Header=BB46_10 Depth=1
	s_nop 0
	v_mov_b32_dpp v3, v14 row_shr:1 row_mask:0xf bank_mask:0xf
	v_add_f32_e32 v3, v14, v3
	s_nop 1
	v_mov_b32_dpp v4, v3 row_shr:2 row_mask:0xf bank_mask:0xf
	v_add_f32_e32 v3, v3, v4
	;; [unrolled: 3-line block ×3, first 2 shown]
	s_nop 1
	v_mov_b32_dpp v4, v3 row_shr:8 row_mask:0xf bank_mask:0xc
	s_and_saveexec_b64 s[6:7], s[2:3]
	s_cbranch_execz .LBB46_9
; %bb.22:                               ;   in Loop: Header=BB46_10 Depth=1
	v_add_f32_e32 v3, v3, v4
	v_add_u32_e32 v4, s37, v2
	s_and_b64 vcc, exec, s[26:27]
	v_mul_f32_e32 v3, s18, v3
	v_ashrrev_i32_e32 v5, 31, v4
	s_cbranch_vccz .LBB46_24
; %bb.23:                               ;   in Loop: Header=BB46_10 Depth=1
	v_lshlrev_b64 v[6:7], 2, v[4:5]
	v_mov_b32_e32 v8, s9
	v_add_co_u32_e32 v6, vcc, s8, v6
	v_addc_co_u32_e32 v7, vcc, v8, v7, vcc
	global_store_dword v[6:7], v3, off
	s_cbranch_execnz .LBB46_9
	s_branch .LBB46_25
.LBB46_24:                              ;   in Loop: Header=BB46_10 Depth=1
.LBB46_25:                              ;   in Loop: Header=BB46_10 Depth=1
	v_lshlrev_b64 v[4:5], 2, v[4:5]
	v_mov_b32_e32 v6, s9
	v_add_co_u32_e32 v4, vcc, s8, v4
	v_addc_co_u32_e32 v5, vcc, v6, v5, vcc
	global_load_dword v6, v[4:5], off
	s_waitcnt vmcnt(0)
	v_fmac_f32_e32 v3, s20, v6
	global_store_dword v[4:5], v3, off
	s_branch .LBB46_9
.LBB46_26:
	s_endpgm
	.section	.rodata,"a",@progbits
	.p2align	6, 0x0
	.amdhsa_kernel _ZN9rocsparseL22bsrxmvn_general_kernelILj256ELj16EfiiaafEEv20rocsparse_direction_NS_24const_host_device_scalarIT1_EET3_PKS5_PKT2_SA_S7_PKT4_S5_PKT5_S4_PT6_21rocsparse_index_base_b
		.amdhsa_group_segment_fixed_size 0
		.amdhsa_private_segment_fixed_size 0
		.amdhsa_kernarg_size 104
		.amdhsa_user_sgpr_count 6
		.amdhsa_user_sgpr_private_segment_buffer 1
		.amdhsa_user_sgpr_dispatch_ptr 0
		.amdhsa_user_sgpr_queue_ptr 0
		.amdhsa_user_sgpr_kernarg_segment_ptr 1
		.amdhsa_user_sgpr_dispatch_id 0
		.amdhsa_user_sgpr_flat_scratch_init 0
		.amdhsa_user_sgpr_kernarg_preload_length 0
		.amdhsa_user_sgpr_kernarg_preload_offset 0
		.amdhsa_user_sgpr_private_segment_size 0
		.amdhsa_uses_dynamic_stack 0
		.amdhsa_system_sgpr_private_segment_wavefront_offset 0
		.amdhsa_system_sgpr_workgroup_id_x 1
		.amdhsa_system_sgpr_workgroup_id_y 0
		.amdhsa_system_sgpr_workgroup_id_z 0
		.amdhsa_system_sgpr_workgroup_info 0
		.amdhsa_system_vgpr_workitem_id 0
		.amdhsa_next_free_vgpr 18
		.amdhsa_next_free_sgpr 41
		.amdhsa_accum_offset 20
		.amdhsa_reserve_vcc 1
		.amdhsa_reserve_flat_scratch 0
		.amdhsa_float_round_mode_32 0
		.amdhsa_float_round_mode_16_64 0
		.amdhsa_float_denorm_mode_32 3
		.amdhsa_float_denorm_mode_16_64 3
		.amdhsa_dx10_clamp 1
		.amdhsa_ieee_mode 1
		.amdhsa_fp16_overflow 0
		.amdhsa_tg_split 0
		.amdhsa_exception_fp_ieee_invalid_op 0
		.amdhsa_exception_fp_denorm_src 0
		.amdhsa_exception_fp_ieee_div_zero 0
		.amdhsa_exception_fp_ieee_overflow 0
		.amdhsa_exception_fp_ieee_underflow 0
		.amdhsa_exception_fp_ieee_inexact 0
		.amdhsa_exception_int_div_zero 0
	.end_amdhsa_kernel
	.section	.text._ZN9rocsparseL22bsrxmvn_general_kernelILj256ELj16EfiiaafEEv20rocsparse_direction_NS_24const_host_device_scalarIT1_EET3_PKS5_PKT2_SA_S7_PKT4_S5_PKT5_S4_PT6_21rocsparse_index_base_b,"axG",@progbits,_ZN9rocsparseL22bsrxmvn_general_kernelILj256ELj16EfiiaafEEv20rocsparse_direction_NS_24const_host_device_scalarIT1_EET3_PKS5_PKT2_SA_S7_PKT4_S5_PKT5_S4_PT6_21rocsparse_index_base_b,comdat
.Lfunc_end46:
	.size	_ZN9rocsparseL22bsrxmvn_general_kernelILj256ELj16EfiiaafEEv20rocsparse_direction_NS_24const_host_device_scalarIT1_EET3_PKS5_PKT2_SA_S7_PKT4_S5_PKT5_S4_PT6_21rocsparse_index_base_b, .Lfunc_end46-_ZN9rocsparseL22bsrxmvn_general_kernelILj256ELj16EfiiaafEEv20rocsparse_direction_NS_24const_host_device_scalarIT1_EET3_PKS5_PKT2_SA_S7_PKT4_S5_PKT5_S4_PT6_21rocsparse_index_base_b
                                        ; -- End function
	.section	.AMDGPU.csdata,"",@progbits
; Kernel info:
; codeLenInByte = 940
; NumSgprs: 45
; NumVgprs: 18
; NumAgprs: 0
; TotalNumVgprs: 18
; ScratchSize: 0
; MemoryBound: 0
; FloatMode: 240
; IeeeMode: 1
; LDSByteSize: 0 bytes/workgroup (compile time only)
; SGPRBlocks: 5
; VGPRBlocks: 2
; NumSGPRsForWavesPerEU: 45
; NumVGPRsForWavesPerEU: 18
; AccumOffset: 20
; Occupancy: 8
; WaveLimiterHint : 1
; COMPUTE_PGM_RSRC2:SCRATCH_EN: 0
; COMPUTE_PGM_RSRC2:USER_SGPR: 6
; COMPUTE_PGM_RSRC2:TRAP_HANDLER: 0
; COMPUTE_PGM_RSRC2:TGID_X_EN: 1
; COMPUTE_PGM_RSRC2:TGID_Y_EN: 0
; COMPUTE_PGM_RSRC2:TGID_Z_EN: 0
; COMPUTE_PGM_RSRC2:TIDIG_COMP_CNT: 0
; COMPUTE_PGM_RSRC3_GFX90A:ACCUM_OFFSET: 4
; COMPUTE_PGM_RSRC3_GFX90A:TG_SPLIT: 0
	.section	.text._ZN9rocsparseL22bsrxmvn_general_kernelILj1024ELj32EfiiaafEEv20rocsparse_direction_NS_24const_host_device_scalarIT1_EET3_PKS5_PKT2_SA_S7_PKT4_S5_PKT5_S4_PT6_21rocsparse_index_base_b,"axG",@progbits,_ZN9rocsparseL22bsrxmvn_general_kernelILj1024ELj32EfiiaafEEv20rocsparse_direction_NS_24const_host_device_scalarIT1_EET3_PKS5_PKT2_SA_S7_PKT4_S5_PKT5_S4_PT6_21rocsparse_index_base_b,comdat
	.globl	_ZN9rocsparseL22bsrxmvn_general_kernelILj1024ELj32EfiiaafEEv20rocsparse_direction_NS_24const_host_device_scalarIT1_EET3_PKS5_PKT2_SA_S7_PKT4_S5_PKT5_S4_PT6_21rocsparse_index_base_b ; -- Begin function _ZN9rocsparseL22bsrxmvn_general_kernelILj1024ELj32EfiiaafEEv20rocsparse_direction_NS_24const_host_device_scalarIT1_EET3_PKS5_PKT2_SA_S7_PKT4_S5_PKT5_S4_PT6_21rocsparse_index_base_b
	.p2align	8
	.type	_ZN9rocsparseL22bsrxmvn_general_kernelILj1024ELj32EfiiaafEEv20rocsparse_direction_NS_24const_host_device_scalarIT1_EET3_PKS5_PKT2_SA_S7_PKT4_S5_PKT5_S4_PT6_21rocsparse_index_base_b,@function
_ZN9rocsparseL22bsrxmvn_general_kernelILj1024ELj32EfiiaafEEv20rocsparse_direction_NS_24const_host_device_scalarIT1_EET3_PKS5_PKT2_SA_S7_PKT4_S5_PKT5_S4_PT6_21rocsparse_index_base_b: ; @_ZN9rocsparseL22bsrxmvn_general_kernelILj1024ELj32EfiiaafEEv20rocsparse_direction_NS_24const_host_device_scalarIT1_EET3_PKS5_PKT2_SA_S7_PKT4_S5_PKT5_S4_PT6_21rocsparse_index_base_b
; %bb.0:
	s_load_dwordx2 s[16:17], s[4:5], 0x60
	s_load_dwordx2 s[18:19], s[4:5], 0x8
	;; [unrolled: 1-line block ×3, first 2 shown]
	s_waitcnt lgkmcnt(0)
	s_bitcmp1_b32 s17, 0
	s_cselect_b64 s[2:3], -1, 0
	s_xor_b64 s[0:1], s[2:3], -1
	s_and_b64 vcc, exec, s[2:3]
	s_cbranch_vccnz .LBB47_2
; %bb.1:
	s_load_dword s18, s[18:19], 0x0
.LBB47_2:
	s_andn2_b64 vcc, exec, s[0:1]
	s_cbranch_vccnz .LBB47_4
; %bb.3:
	s_load_dword s20, s[20:21], 0x0
.LBB47_4:
	s_waitcnt lgkmcnt(0)
	v_cmp_neq_f32_e64 s[0:1], s18, 0
	v_cmp_neq_f32_e64 s[2:3], s20, 1.0
	s_or_b64 s[0:1], s[0:1], s[2:3]
	s_andn2_b64 vcc, exec, s[0:1]
	s_cbranch_vccnz .LBB47_26
; %bb.5:
	s_load_dwordx2 s[0:1], s[4:5], 0x18
	s_waitcnt lgkmcnt(0)
	s_cmp_eq_u64 s[0:1], 0
	s_cbranch_scc1 .LBB47_7
; %bb.6:
	s_ashr_i32 s7, s6, 31
	s_lshl_b64 s[2:3], s[6:7], 2
	s_add_u32 s0, s0, s2
	s_addc_u32 s1, s1, s3
	s_load_dword s0, s[0:1], 0x0
	s_waitcnt lgkmcnt(0)
	s_sub_i32 s6, s0, s16
.LBB47_7:
	s_load_dword s17, s[4:5], 0x40
	v_lshrrev_b32_e32 v2, 5, v0
	s_waitcnt lgkmcnt(0)
	v_cmp_gt_i32_e32 vcc, s17, v2
	s_and_saveexec_b64 s[0:1], vcc
	s_cbranch_execz .LBB47_26
; %bb.8:
	s_load_dwordx8 s[8:15], s[4:5], 0x20
	s_ashr_i32 s7, s6, 31
	s_lshl_b64 s[0:1], s[6:7], 2
	s_mul_hi_u32 s21, s17, s17
	s_mul_i32 s33, s17, s17
	s_waitcnt lgkmcnt(0)
	s_add_u32 s2, s8, s0
	s_addc_u32 s3, s9, s1
	s_load_dword s7, s[2:3], 0x0
	s_load_dwordx2 s[8:9], s[4:5], 0x58
	s_load_dwordx2 s[22:23], s[4:5], 0x48
	s_mul_i32 s37, s6, s17
	v_and_b32_e32 v0, 31, v0
	s_waitcnt lgkmcnt(0)
	s_sub_i32 s19, s7, s16
	s_add_u32 s2, s2, 4
	s_addc_u32 s3, s3, 0
	s_add_u32 s0, s10, s0
	s_addc_u32 s1, s11, s1
	s_cmp_eq_u64 s[10:11], 0
	s_cselect_b32 s1, s3, s1
	s_cselect_b32 s0, s2, s0
	s_load_dword s2, s[0:1], 0x0
	s_load_dword s3, s[4:5], 0x0
	s_mul_hi_u32 s28, s19, s33
	v_mov_b32_e32 v3, 0
	s_mov_b64 s[24:25], 0
	s_waitcnt lgkmcnt(0)
	s_sub_i32 s36, s2, s16
	s_cmp_lt_i32 s7, s2
	s_cselect_b64 s[4:5], -1, 0
	s_cmp_lg_u32 s3, 0
	s_cselect_b64 s[10:11], -1, 0
	s_ashr_i32 s6, s19, 31
	s_mul_i32 s7, s19, s21
	s_add_i32 s7, s28, s7
	s_mul_i32 s6, s6, s33
	v_cndmask_b32_e64 v4, 0, 1, s[4:5]
	v_cmp_gt_u32_e64 s[0:1], s17, v0
	v_cmp_eq_u32_e64 s[2:3], 31, v0
	v_cmp_eq_f32_e64 s[26:27], s20, 0
	s_add_i32 s38, s7, s6
	s_mul_i32 s39, s19, s33
	v_mul_lo_u32 v12, s17, v2
	s_lshl_b32 s40, s17, 5
	v_mov_b32_e32 v1, v3
	v_mul_lo_u32 v13, s17, v0
	v_cmp_ne_u32_e64 s[4:5], 1, v4
	s_branch .LBB47_10
.LBB47_9:                               ;   in Loop: Header=BB47_10 Depth=1
	s_or_b64 exec, exec, s[6:7]
	v_add_u32_e32 v2, 32, v2
	v_cmp_le_i32_e32 vcc, s17, v2
	s_or_b64 s[24:25], vcc, s[24:25]
	v_add_u32_e32 v12, s40, v12
	s_andn2_b64 exec, exec, s[24:25]
	s_cbranch_execz .LBB47_26
.LBB47_10:                              ; =>This Loop Header: Depth=1
                                        ;     Child Loop BB47_14 Depth 2
                                        ;       Child Loop BB47_17 Depth 3
	s_and_b64 vcc, exec, s[4:5]
	v_mov_b32_e32 v14, 0
	s_cbranch_vccnz .LBB47_21
; %bb.11:                               ;   in Loop: Header=BB47_10 Depth=1
	v_ashrrev_i32_e32 v5, 31, v12
	v_mov_b32_e32 v6, s38
	v_add_co_u32_e32 v4, vcc, s39, v12
	v_addc_co_u32_e32 v5, vcc, v6, v5, vcc
	v_mov_b32_e32 v14, 0
	s_mov_b32 s6, s19
	s_branch .LBB47_14
.LBB47_12:                              ;   in Loop: Header=BB47_14 Depth=2
	s_or_b64 exec, exec, s[30:31]
.LBB47_13:                              ;   in Loop: Header=BB47_14 Depth=2
	s_or_b64 exec, exec, s[28:29]
	s_add_i32 s6, s6, 1
	v_mov_b32_e32 v6, s21
	v_add_co_u32_e32 v4, vcc, s33, v4
	s_cmp_ge_i32 s6, s36
	v_addc_co_u32_e32 v5, vcc, v5, v6, vcc
	s_cbranch_scc1 .LBB47_21
.LBB47_14:                              ;   Parent Loop BB47_10 Depth=1
                                        ; =>  This Loop Header: Depth=2
                                        ;       Child Loop BB47_17 Depth 3
	s_and_saveexec_b64 s[28:29], s[0:1]
	s_cbranch_execz .LBB47_13
; %bb.15:                               ;   in Loop: Header=BB47_14 Depth=2
	s_ashr_i32 s7, s6, 31
	s_lshl_b64 s[30:31], s[6:7], 2
	s_add_u32 s30, s12, s30
	s_addc_u32 s31, s13, s31
	s_load_dword s30, s[30:31], 0x0
	s_mul_i32 s31, s21, s6
	v_mov_b32_e32 v6, s6
	s_mul_i32 s7, s33, s7
	s_add_i32 s7, s7, s31
	s_waitcnt lgkmcnt(0)
	s_sub_i32 s34, s30, s16
	v_mad_u64_u32 v[6:7], s[30:31], s33, v6, v[2:3]
	v_add_u32_e32 v7, s7, v7
	s_mul_i32 s7, s34, s17
	s_mov_b64 s[30:31], 0
	v_mov_b32_e32 v15, v13
	v_pk_mov_b32 v[8:9], v[0:1], v[0:1] op_sel:[0,1]
	s_branch .LBB47_17
.LBB47_16:                              ;   in Loop: Header=BB47_17 Depth=3
	v_mov_b32_e32 v16, s15
	v_add_co_u32_e32 v10, vcc, s14, v10
	v_addc_co_u32_e32 v11, vcc, v16, v11, vcc
	global_load_sbyte v16, v[10:11], off
	v_add_u32_e32 v10, s7, v8
	v_ashrrev_i32_e32 v11, 31, v10
	v_mov_b32_e32 v17, s23
	v_add_co_u32_e32 v10, vcc, s22, v10
	v_addc_co_u32_e32 v11, vcc, v17, v11, vcc
	global_load_sbyte v10, v[10:11], off
	v_add_co_u32_e32 v8, vcc, 32, v8
	v_addc_co_u32_e32 v9, vcc, 0, v9, vcc
	v_cmp_le_i32_e32 vcc, s17, v8
	s_or_b64 s[30:31], vcc, s[30:31]
	v_add_u32_e32 v15, s40, v15
	s_waitcnt vmcnt(1)
	v_cvt_f32_i32_e32 v11, v16
	s_waitcnt vmcnt(0)
	v_cvt_f32_i32_e32 v10, v10
	v_fmac_f32_e32 v14, v11, v10
	s_andn2_b64 exec, exec, s[30:31]
	s_cbranch_execz .LBB47_12
.LBB47_17:                              ;   Parent Loop BB47_10 Depth=1
                                        ;     Parent Loop BB47_14 Depth=2
                                        ; =>    This Inner Loop Header: Depth=3
	s_and_b64 vcc, exec, s[10:11]
	s_cbranch_vccz .LBB47_19
; %bb.18:                               ;   in Loop: Header=BB47_17 Depth=3
	v_ashrrev_i32_e32 v11, 31, v15
	v_add_co_u32_e32 v10, vcc, v6, v15
	v_addc_co_u32_e32 v11, vcc, v7, v11, vcc
	s_cbranch_execnz .LBB47_16
	s_branch .LBB47_20
.LBB47_19:                              ;   in Loop: Header=BB47_17 Depth=3
                                        ; implicit-def: $vgpr10_vgpr11
.LBB47_20:                              ;   in Loop: Header=BB47_17 Depth=3
	v_add_co_u32_e32 v10, vcc, v4, v8
	v_addc_co_u32_e32 v11, vcc, v5, v9, vcc
	s_branch .LBB47_16
.LBB47_21:                              ;   in Loop: Header=BB47_10 Depth=1
	s_nop 0
	v_mov_b32_dpp v4, v14 row_shr:1 row_mask:0xf bank_mask:0xf
	v_add_f32_e32 v4, v14, v4
	s_nop 1
	v_mov_b32_dpp v5, v4 row_shr:2 row_mask:0xf bank_mask:0xf
	v_add_f32_e32 v4, v4, v5
	;; [unrolled: 3-line block ×4, first 2 shown]
	s_nop 1
	v_mov_b32_dpp v5, v4 row_bcast:15 row_mask:0xa bank_mask:0xf
	s_and_saveexec_b64 s[6:7], s[2:3]
	s_cbranch_execz .LBB47_9
; %bb.22:                               ;   in Loop: Header=BB47_10 Depth=1
	v_add_f32_e32 v4, v4, v5
	v_mul_f32_e32 v6, s18, v4
	v_add_u32_e32 v4, s37, v2
	s_and_b64 vcc, exec, s[26:27]
	v_ashrrev_i32_e32 v5, 31, v4
	s_cbranch_vccz .LBB47_24
; %bb.23:                               ;   in Loop: Header=BB47_10 Depth=1
	v_lshlrev_b64 v[8:9], 2, v[4:5]
	v_mov_b32_e32 v7, s9
	v_add_co_u32_e32 v8, vcc, s8, v8
	v_addc_co_u32_e32 v9, vcc, v7, v9, vcc
	global_store_dword v[8:9], v6, off
	s_cbranch_execnz .LBB47_9
	s_branch .LBB47_25
.LBB47_24:                              ;   in Loop: Header=BB47_10 Depth=1
.LBB47_25:                              ;   in Loop: Header=BB47_10 Depth=1
	v_lshlrev_b64 v[4:5], 2, v[4:5]
	v_mov_b32_e32 v7, s9
	v_add_co_u32_e32 v4, vcc, s8, v4
	v_addc_co_u32_e32 v5, vcc, v7, v5, vcc
	global_load_dword v7, v[4:5], off
	s_waitcnt vmcnt(0)
	v_fmac_f32_e32 v6, s20, v7
	global_store_dword v[4:5], v6, off
	s_branch .LBB47_9
.LBB47_26:
	s_endpgm
	.section	.rodata,"a",@progbits
	.p2align	6, 0x0
	.amdhsa_kernel _ZN9rocsparseL22bsrxmvn_general_kernelILj1024ELj32EfiiaafEEv20rocsparse_direction_NS_24const_host_device_scalarIT1_EET3_PKS5_PKT2_SA_S7_PKT4_S5_PKT5_S4_PT6_21rocsparse_index_base_b
		.amdhsa_group_segment_fixed_size 0
		.amdhsa_private_segment_fixed_size 0
		.amdhsa_kernarg_size 104
		.amdhsa_user_sgpr_count 6
		.amdhsa_user_sgpr_private_segment_buffer 1
		.amdhsa_user_sgpr_dispatch_ptr 0
		.amdhsa_user_sgpr_queue_ptr 0
		.amdhsa_user_sgpr_kernarg_segment_ptr 1
		.amdhsa_user_sgpr_dispatch_id 0
		.amdhsa_user_sgpr_flat_scratch_init 0
		.amdhsa_user_sgpr_kernarg_preload_length 0
		.amdhsa_user_sgpr_kernarg_preload_offset 0
		.amdhsa_user_sgpr_private_segment_size 0
		.amdhsa_uses_dynamic_stack 0
		.amdhsa_system_sgpr_private_segment_wavefront_offset 0
		.amdhsa_system_sgpr_workgroup_id_x 1
		.amdhsa_system_sgpr_workgroup_id_y 0
		.amdhsa_system_sgpr_workgroup_id_z 0
		.amdhsa_system_sgpr_workgroup_info 0
		.amdhsa_system_vgpr_workitem_id 0
		.amdhsa_next_free_vgpr 18
		.amdhsa_next_free_sgpr 41
		.amdhsa_accum_offset 20
		.amdhsa_reserve_vcc 1
		.amdhsa_reserve_flat_scratch 0
		.amdhsa_float_round_mode_32 0
		.amdhsa_float_round_mode_16_64 0
		.amdhsa_float_denorm_mode_32 3
		.amdhsa_float_denorm_mode_16_64 3
		.amdhsa_dx10_clamp 1
		.amdhsa_ieee_mode 1
		.amdhsa_fp16_overflow 0
		.amdhsa_tg_split 0
		.amdhsa_exception_fp_ieee_invalid_op 0
		.amdhsa_exception_fp_denorm_src 0
		.amdhsa_exception_fp_ieee_div_zero 0
		.amdhsa_exception_fp_ieee_overflow 0
		.amdhsa_exception_fp_ieee_underflow 0
		.amdhsa_exception_fp_ieee_inexact 0
		.amdhsa_exception_int_div_zero 0
	.end_amdhsa_kernel
	.section	.text._ZN9rocsparseL22bsrxmvn_general_kernelILj1024ELj32EfiiaafEEv20rocsparse_direction_NS_24const_host_device_scalarIT1_EET3_PKS5_PKT2_SA_S7_PKT4_S5_PKT5_S4_PT6_21rocsparse_index_base_b,"axG",@progbits,_ZN9rocsparseL22bsrxmvn_general_kernelILj1024ELj32EfiiaafEEv20rocsparse_direction_NS_24const_host_device_scalarIT1_EET3_PKS5_PKT2_SA_S7_PKT4_S5_PKT5_S4_PT6_21rocsparse_index_base_b,comdat
.Lfunc_end47:
	.size	_ZN9rocsparseL22bsrxmvn_general_kernelILj1024ELj32EfiiaafEEv20rocsparse_direction_NS_24const_host_device_scalarIT1_EET3_PKS5_PKT2_SA_S7_PKT4_S5_PKT5_S4_PT6_21rocsparse_index_base_b, .Lfunc_end47-_ZN9rocsparseL22bsrxmvn_general_kernelILj1024ELj32EfiiaafEEv20rocsparse_direction_NS_24const_host_device_scalarIT1_EET3_PKS5_PKT2_SA_S7_PKT4_S5_PKT5_S4_PT6_21rocsparse_index_base_b
                                        ; -- End function
	.section	.AMDGPU.csdata,"",@progbits
; Kernel info:
; codeLenInByte = 956
; NumSgprs: 45
; NumVgprs: 18
; NumAgprs: 0
; TotalNumVgprs: 18
; ScratchSize: 0
; MemoryBound: 0
; FloatMode: 240
; IeeeMode: 1
; LDSByteSize: 0 bytes/workgroup (compile time only)
; SGPRBlocks: 5
; VGPRBlocks: 2
; NumSGPRsForWavesPerEU: 45
; NumVGPRsForWavesPerEU: 18
; AccumOffset: 20
; Occupancy: 8
; WaveLimiterHint : 1
; COMPUTE_PGM_RSRC2:SCRATCH_EN: 0
; COMPUTE_PGM_RSRC2:USER_SGPR: 6
; COMPUTE_PGM_RSRC2:TRAP_HANDLER: 0
; COMPUTE_PGM_RSRC2:TGID_X_EN: 1
; COMPUTE_PGM_RSRC2:TGID_Y_EN: 0
; COMPUTE_PGM_RSRC2:TGID_Z_EN: 0
; COMPUTE_PGM_RSRC2:TIDIG_COMP_CNT: 0
; COMPUTE_PGM_RSRC3_GFX90A:ACCUM_OFFSET: 4
; COMPUTE_PGM_RSRC3_GFX90A:TG_SPLIT: 0
	.section	.text._ZN9rocsparseL22bsrxmvn_general_kernelILj64ELj8EfliaafEEv20rocsparse_direction_NS_24const_host_device_scalarIT1_EET3_PKS5_PKT2_SA_S7_PKT4_S5_PKT5_S4_PT6_21rocsparse_index_base_b,"axG",@progbits,_ZN9rocsparseL22bsrxmvn_general_kernelILj64ELj8EfliaafEEv20rocsparse_direction_NS_24const_host_device_scalarIT1_EET3_PKS5_PKT2_SA_S7_PKT4_S5_PKT5_S4_PT6_21rocsparse_index_base_b,comdat
	.globl	_ZN9rocsparseL22bsrxmvn_general_kernelILj64ELj8EfliaafEEv20rocsparse_direction_NS_24const_host_device_scalarIT1_EET3_PKS5_PKT2_SA_S7_PKT4_S5_PKT5_S4_PT6_21rocsparse_index_base_b ; -- Begin function _ZN9rocsparseL22bsrxmvn_general_kernelILj64ELj8EfliaafEEv20rocsparse_direction_NS_24const_host_device_scalarIT1_EET3_PKS5_PKT2_SA_S7_PKT4_S5_PKT5_S4_PT6_21rocsparse_index_base_b
	.p2align	8
	.type	_ZN9rocsparseL22bsrxmvn_general_kernelILj64ELj8EfliaafEEv20rocsparse_direction_NS_24const_host_device_scalarIT1_EET3_PKS5_PKT2_SA_S7_PKT4_S5_PKT5_S4_PT6_21rocsparse_index_base_b,@function
_ZN9rocsparseL22bsrxmvn_general_kernelILj64ELj8EfliaafEEv20rocsparse_direction_NS_24const_host_device_scalarIT1_EET3_PKS5_PKT2_SA_S7_PKT4_S5_PKT5_S4_PT6_21rocsparse_index_base_b: ; @_ZN9rocsparseL22bsrxmvn_general_kernelILj64ELj8EfliaafEEv20rocsparse_direction_NS_24const_host_device_scalarIT1_EET3_PKS5_PKT2_SA_S7_PKT4_S5_PKT5_S4_PT6_21rocsparse_index_base_b
; %bb.0:
	s_load_dwordx2 s[16:17], s[4:5], 0x60
	s_load_dwordx2 s[18:19], s[4:5], 0x8
	;; [unrolled: 1-line block ×3, first 2 shown]
	s_waitcnt lgkmcnt(0)
	s_bitcmp1_b32 s17, 0
	s_cselect_b64 s[2:3], -1, 0
	s_xor_b64 s[0:1], s[2:3], -1
	s_and_b64 vcc, exec, s[2:3]
	s_cbranch_vccnz .LBB48_2
; %bb.1:
	s_load_dword s18, s[18:19], 0x0
.LBB48_2:
	s_andn2_b64 vcc, exec, s[0:1]
	s_cbranch_vccnz .LBB48_4
; %bb.3:
	s_load_dword s20, s[20:21], 0x0
.LBB48_4:
	s_waitcnt lgkmcnt(0)
	v_cmp_neq_f32_e64 s[0:1], s18, 0
	v_cmp_neq_f32_e64 s[2:3], s20, 1.0
	s_or_b64 s[0:1], s[0:1], s[2:3]
	s_andn2_b64 vcc, exec, s[0:1]
	s_cbranch_vccnz .LBB48_26
; %bb.5:
	s_load_dwordx2 s[0:1], s[4:5], 0x18
	s_waitcnt lgkmcnt(0)
	s_cmp_eq_u64 s[0:1], 0
	s_cbranch_scc1 .LBB48_7
; %bb.6:
	s_ashr_i32 s7, s6, 31
	s_lshl_b64 s[2:3], s[6:7], 2
	s_add_u32 s0, s0, s2
	s_addc_u32 s1, s1, s3
	s_load_dword s0, s[0:1], 0x0
	s_waitcnt lgkmcnt(0)
	s_sub_i32 s6, s0, s16
.LBB48_7:
	s_load_dword s17, s[4:5], 0x40
	v_lshrrev_b32_e32 v2, 3, v0
	s_waitcnt lgkmcnt(0)
	v_cmp_gt_i32_e32 vcc, s17, v2
	s_and_saveexec_b64 s[0:1], vcc
	s_cbranch_execz .LBB48_26
; %bb.8:
	s_load_dwordx8 s[8:15], s[4:5], 0x20
	s_ashr_i32 s7, s6, 31
	s_lshl_b64 s[0:1], s[6:7], 3
	s_mul_hi_u32 s19, s17, s17
	s_mul_i32 s21, s17, s17
	s_waitcnt lgkmcnt(0)
	s_add_u32 s2, s8, s0
	s_addc_u32 s3, s9, s1
	s_load_dwordx2 s[34:35], s[2:3], 0x0
	s_load_dwordx2 s[8:9], s[4:5], 0x58
	;; [unrolled: 1-line block ×3, first 2 shown]
	v_and_b32_e32 v0, 7, v0
	s_mov_b64 s[24:25], 0
	s_waitcnt lgkmcnt(0)
	s_sub_u32 s26, s34, s16
	s_subb_u32 s27, s35, 0
	s_add_u32 s2, s2, 8
	s_addc_u32 s3, s3, 0
	s_add_u32 s0, s10, s0
	s_addc_u32 s1, s11, s1
	s_cmp_eq_u64 s[10:11], 0
	s_cselect_b32 s1, s3, s1
	s_cselect_b32 s0, s2, s0
	s_load_dwordx2 s[2:3], s[0:1], 0x0
	s_load_dword s7, s[4:5], 0x0
	s_mul_i32 s4, s26, s19
	s_mul_hi_u32 s5, s26, s21
	v_cmp_gt_u32_e64 s[0:1], s17, v0
	s_waitcnt lgkmcnt(0)
	s_sub_u32 s10, s2, s16
	v_pk_mov_b32 v[4:5], s[2:3], s[2:3] op_sel:[0,1]
	s_subb_u32 s11, s3, 0
	s_cmp_lg_u32 s7, 0
	v_cmp_lt_i64_e32 vcc, s[34:35], v[4:5]
	s_cselect_b64 s[28:29], -1, 0
	s_add_i32 s4, s5, s4
	s_mul_i32 s5, s27, s21
	v_cndmask_b32_e64 v3, 0, 1, vcc
	v_cmp_eq_u32_e64 s[2:3], 7, v0
	v_cmp_eq_f32_e64 s[30:31], s20, 0
	s_mul_i32 s33, s6, s17
	s_add_i32 s40, s4, s5
	s_mul_i32 s41, s26, s21
	v_mul_lo_u32 v12, s17, v2
	s_lshl_b32 s42, s17, 3
	v_mov_b32_e32 v1, 0
	v_mul_lo_u32 v13, s17, v0
	v_cmp_ne_u32_e64 s[4:5], 1, v3
	s_branch .LBB48_10
.LBB48_9:                               ;   in Loop: Header=BB48_10 Depth=1
	s_or_b64 exec, exec, s[6:7]
	v_add_u32_e32 v2, 8, v2
	v_cmp_le_i32_e32 vcc, s17, v2
	s_or_b64 s[24:25], vcc, s[24:25]
	v_add_u32_e32 v12, s42, v12
	s_andn2_b64 exec, exec, s[24:25]
	s_cbranch_execz .LBB48_26
.LBB48_10:                              ; =>This Loop Header: Depth=1
                                        ;     Child Loop BB48_14 Depth 2
                                        ;       Child Loop BB48_17 Depth 3
	s_and_b64 vcc, exec, s[4:5]
	v_mov_b32_e32 v14, 0
	s_cbranch_vccnz .LBB48_21
; %bb.11:                               ;   in Loop: Header=BB48_10 Depth=1
	v_ashrrev_i32_e32 v3, 31, v12
	v_mov_b32_e32 v5, s40
	v_add_co_u32_e32 v4, vcc, s41, v12
	v_addc_co_u32_e32 v5, vcc, v5, v3, vcc
	v_ashrrev_i32_e32 v3, 31, v2
	v_mov_b32_e32 v14, 0
	s_mov_b64 s[6:7], s[26:27]
	s_branch .LBB48_14
.LBB48_12:                              ;   in Loop: Header=BB48_14 Depth=2
	s_or_b64 exec, exec, s[36:37]
.LBB48_13:                              ;   in Loop: Header=BB48_14 Depth=2
	s_or_b64 exec, exec, s[34:35]
	s_add_u32 s6, s6, 1
	v_mov_b32_e32 v6, s19
	v_add_co_u32_e32 v4, vcc, s21, v4
	s_addc_u32 s7, s7, 0
	v_addc_co_u32_e32 v5, vcc, v5, v6, vcc
	v_pk_mov_b32 v[6:7], s[10:11], s[10:11] op_sel:[0,1]
	v_cmp_ge_i64_e32 vcc, s[6:7], v[6:7]
	s_cbranch_vccnz .LBB48_21
.LBB48_14:                              ;   Parent Loop BB48_10 Depth=1
                                        ; =>  This Loop Header: Depth=2
                                        ;       Child Loop BB48_17 Depth 3
	s_and_saveexec_b64 s[34:35], s[0:1]
	s_cbranch_execz .LBB48_13
; %bb.15:                               ;   in Loop: Header=BB48_14 Depth=2
	s_lshl_b64 s[36:37], s[6:7], 2
	s_add_u32 s36, s12, s36
	s_addc_u32 s37, s13, s37
	s_load_dword s36, s[36:37], 0x0
	s_mul_i32 s37, s19, s6
	s_mul_i32 s38, s21, s7
	v_mov_b32_e32 v6, s6
	s_add_i32 s38, s38, s37
	s_waitcnt lgkmcnt(0)
	s_sub_i32 s39, s36, s16
	v_mad_u64_u32 v[6:7], s[36:37], s21, v6, v[2:3]
	v_add_u32_e32 v7, s38, v7
	s_mul_i32 s43, s39, s17
	s_mov_b64 s[36:37], 0
	v_mov_b32_e32 v15, v13
	v_pk_mov_b32 v[8:9], v[0:1], v[0:1] op_sel:[0,1]
	s_branch .LBB48_17
.LBB48_16:                              ;   in Loop: Header=BB48_17 Depth=3
	v_mov_b32_e32 v16, s15
	v_add_co_u32_e32 v10, vcc, s14, v10
	v_addc_co_u32_e32 v11, vcc, v16, v11, vcc
	global_load_sbyte v16, v[10:11], off
	v_add_u32_e32 v10, s43, v8
	v_ashrrev_i32_e32 v11, 31, v10
	v_mov_b32_e32 v17, s23
	v_add_co_u32_e32 v10, vcc, s22, v10
	v_addc_co_u32_e32 v11, vcc, v17, v11, vcc
	global_load_sbyte v10, v[10:11], off
	v_add_co_u32_e32 v8, vcc, 8, v8
	v_addc_co_u32_e32 v9, vcc, 0, v9, vcc
	v_cmp_le_i32_e32 vcc, s17, v8
	s_or_b64 s[36:37], vcc, s[36:37]
	v_add_u32_e32 v15, s42, v15
	s_waitcnt vmcnt(1)
	v_cvt_f32_i32_e32 v11, v16
	s_waitcnt vmcnt(0)
	v_cvt_f32_i32_e32 v10, v10
	v_fmac_f32_e32 v14, v11, v10
	s_andn2_b64 exec, exec, s[36:37]
	s_cbranch_execz .LBB48_12
.LBB48_17:                              ;   Parent Loop BB48_10 Depth=1
                                        ;     Parent Loop BB48_14 Depth=2
                                        ; =>    This Inner Loop Header: Depth=3
	s_and_b64 vcc, exec, s[28:29]
	s_cbranch_vccz .LBB48_19
; %bb.18:                               ;   in Loop: Header=BB48_17 Depth=3
	v_ashrrev_i32_e32 v11, 31, v15
	v_add_co_u32_e32 v10, vcc, v6, v15
	v_addc_co_u32_e32 v11, vcc, v7, v11, vcc
	s_cbranch_execnz .LBB48_16
	s_branch .LBB48_20
.LBB48_19:                              ;   in Loop: Header=BB48_17 Depth=3
                                        ; implicit-def: $vgpr10_vgpr11
.LBB48_20:                              ;   in Loop: Header=BB48_17 Depth=3
	v_add_co_u32_e32 v10, vcc, v4, v8
	v_addc_co_u32_e32 v11, vcc, v5, v9, vcc
	s_branch .LBB48_16
.LBB48_21:                              ;   in Loop: Header=BB48_10 Depth=1
	s_nop 0
	v_mov_b32_dpp v3, v14 row_shr:1 row_mask:0xf bank_mask:0xf
	v_add_f32_e32 v3, v14, v3
	s_nop 1
	v_mov_b32_dpp v4, v3 row_shr:2 row_mask:0xf bank_mask:0xf
	v_add_f32_e32 v3, v3, v4
	s_nop 1
	v_mov_b32_dpp v4, v3 row_shr:4 row_mask:0xf bank_mask:0xe
	s_and_saveexec_b64 s[6:7], s[2:3]
	s_cbranch_execz .LBB48_9
; %bb.22:                               ;   in Loop: Header=BB48_10 Depth=1
	v_add_f32_e32 v3, v3, v4
	v_add_u32_e32 v4, s33, v2
	s_and_b64 vcc, exec, s[30:31]
	v_mul_f32_e32 v3, s18, v3
	v_ashrrev_i32_e32 v5, 31, v4
	s_cbranch_vccz .LBB48_24
; %bb.23:                               ;   in Loop: Header=BB48_10 Depth=1
	v_lshlrev_b64 v[6:7], 2, v[4:5]
	v_mov_b32_e32 v8, s9
	v_add_co_u32_e32 v6, vcc, s8, v6
	v_addc_co_u32_e32 v7, vcc, v8, v7, vcc
	global_store_dword v[6:7], v3, off
	s_cbranch_execnz .LBB48_9
	s_branch .LBB48_25
.LBB48_24:                              ;   in Loop: Header=BB48_10 Depth=1
.LBB48_25:                              ;   in Loop: Header=BB48_10 Depth=1
	v_lshlrev_b64 v[4:5], 2, v[4:5]
	v_mov_b32_e32 v6, s9
	v_add_co_u32_e32 v4, vcc, s8, v4
	v_addc_co_u32_e32 v5, vcc, v6, v5, vcc
	global_load_dword v6, v[4:5], off
	s_waitcnt vmcnt(0)
	v_fmac_f32_e32 v3, s20, v6
	global_store_dword v[4:5], v3, off
	s_branch .LBB48_9
.LBB48_26:
	s_endpgm
	.section	.rodata,"a",@progbits
	.p2align	6, 0x0
	.amdhsa_kernel _ZN9rocsparseL22bsrxmvn_general_kernelILj64ELj8EfliaafEEv20rocsparse_direction_NS_24const_host_device_scalarIT1_EET3_PKS5_PKT2_SA_S7_PKT4_S5_PKT5_S4_PT6_21rocsparse_index_base_b
		.amdhsa_group_segment_fixed_size 0
		.amdhsa_private_segment_fixed_size 0
		.amdhsa_kernarg_size 104
		.amdhsa_user_sgpr_count 6
		.amdhsa_user_sgpr_private_segment_buffer 1
		.amdhsa_user_sgpr_dispatch_ptr 0
		.amdhsa_user_sgpr_queue_ptr 0
		.amdhsa_user_sgpr_kernarg_segment_ptr 1
		.amdhsa_user_sgpr_dispatch_id 0
		.amdhsa_user_sgpr_flat_scratch_init 0
		.amdhsa_user_sgpr_kernarg_preload_length 0
		.amdhsa_user_sgpr_kernarg_preload_offset 0
		.amdhsa_user_sgpr_private_segment_size 0
		.amdhsa_uses_dynamic_stack 0
		.amdhsa_system_sgpr_private_segment_wavefront_offset 0
		.amdhsa_system_sgpr_workgroup_id_x 1
		.amdhsa_system_sgpr_workgroup_id_y 0
		.amdhsa_system_sgpr_workgroup_id_z 0
		.amdhsa_system_sgpr_workgroup_info 0
		.amdhsa_system_vgpr_workitem_id 0
		.amdhsa_next_free_vgpr 18
		.amdhsa_next_free_sgpr 44
		.amdhsa_accum_offset 20
		.amdhsa_reserve_vcc 1
		.amdhsa_reserve_flat_scratch 0
		.amdhsa_float_round_mode_32 0
		.amdhsa_float_round_mode_16_64 0
		.amdhsa_float_denorm_mode_32 3
		.amdhsa_float_denorm_mode_16_64 3
		.amdhsa_dx10_clamp 1
		.amdhsa_ieee_mode 1
		.amdhsa_fp16_overflow 0
		.amdhsa_tg_split 0
		.amdhsa_exception_fp_ieee_invalid_op 0
		.amdhsa_exception_fp_denorm_src 0
		.amdhsa_exception_fp_ieee_div_zero 0
		.amdhsa_exception_fp_ieee_overflow 0
		.amdhsa_exception_fp_ieee_underflow 0
		.amdhsa_exception_fp_ieee_inexact 0
		.amdhsa_exception_int_div_zero 0
	.end_amdhsa_kernel
	.section	.text._ZN9rocsparseL22bsrxmvn_general_kernelILj64ELj8EfliaafEEv20rocsparse_direction_NS_24const_host_device_scalarIT1_EET3_PKS5_PKT2_SA_S7_PKT4_S5_PKT5_S4_PT6_21rocsparse_index_base_b,"axG",@progbits,_ZN9rocsparseL22bsrxmvn_general_kernelILj64ELj8EfliaafEEv20rocsparse_direction_NS_24const_host_device_scalarIT1_EET3_PKS5_PKT2_SA_S7_PKT4_S5_PKT5_S4_PT6_21rocsparse_index_base_b,comdat
.Lfunc_end48:
	.size	_ZN9rocsparseL22bsrxmvn_general_kernelILj64ELj8EfliaafEEv20rocsparse_direction_NS_24const_host_device_scalarIT1_EET3_PKS5_PKT2_SA_S7_PKT4_S5_PKT5_S4_PT6_21rocsparse_index_base_b, .Lfunc_end48-_ZN9rocsparseL22bsrxmvn_general_kernelILj64ELj8EfliaafEEv20rocsparse_direction_NS_24const_host_device_scalarIT1_EET3_PKS5_PKT2_SA_S7_PKT4_S5_PKT5_S4_PT6_21rocsparse_index_base_b
                                        ; -- End function
	.section	.AMDGPU.csdata,"",@progbits
; Kernel info:
; codeLenInByte = 940
; NumSgprs: 48
; NumVgprs: 18
; NumAgprs: 0
; TotalNumVgprs: 18
; ScratchSize: 0
; MemoryBound: 0
; FloatMode: 240
; IeeeMode: 1
; LDSByteSize: 0 bytes/workgroup (compile time only)
; SGPRBlocks: 5
; VGPRBlocks: 2
; NumSGPRsForWavesPerEU: 48
; NumVGPRsForWavesPerEU: 18
; AccumOffset: 20
; Occupancy: 8
; WaveLimiterHint : 1
; COMPUTE_PGM_RSRC2:SCRATCH_EN: 0
; COMPUTE_PGM_RSRC2:USER_SGPR: 6
; COMPUTE_PGM_RSRC2:TRAP_HANDLER: 0
; COMPUTE_PGM_RSRC2:TGID_X_EN: 1
; COMPUTE_PGM_RSRC2:TGID_Y_EN: 0
; COMPUTE_PGM_RSRC2:TGID_Z_EN: 0
; COMPUTE_PGM_RSRC2:TIDIG_COMP_CNT: 0
; COMPUTE_PGM_RSRC3_GFX90A:ACCUM_OFFSET: 4
; COMPUTE_PGM_RSRC3_GFX90A:TG_SPLIT: 0
	.section	.text._ZN9rocsparseL22bsrxmvn_general_kernelILj256ELj16EfliaafEEv20rocsparse_direction_NS_24const_host_device_scalarIT1_EET3_PKS5_PKT2_SA_S7_PKT4_S5_PKT5_S4_PT6_21rocsparse_index_base_b,"axG",@progbits,_ZN9rocsparseL22bsrxmvn_general_kernelILj256ELj16EfliaafEEv20rocsparse_direction_NS_24const_host_device_scalarIT1_EET3_PKS5_PKT2_SA_S7_PKT4_S5_PKT5_S4_PT6_21rocsparse_index_base_b,comdat
	.globl	_ZN9rocsparseL22bsrxmvn_general_kernelILj256ELj16EfliaafEEv20rocsparse_direction_NS_24const_host_device_scalarIT1_EET3_PKS5_PKT2_SA_S7_PKT4_S5_PKT5_S4_PT6_21rocsparse_index_base_b ; -- Begin function _ZN9rocsparseL22bsrxmvn_general_kernelILj256ELj16EfliaafEEv20rocsparse_direction_NS_24const_host_device_scalarIT1_EET3_PKS5_PKT2_SA_S7_PKT4_S5_PKT5_S4_PT6_21rocsparse_index_base_b
	.p2align	8
	.type	_ZN9rocsparseL22bsrxmvn_general_kernelILj256ELj16EfliaafEEv20rocsparse_direction_NS_24const_host_device_scalarIT1_EET3_PKS5_PKT2_SA_S7_PKT4_S5_PKT5_S4_PT6_21rocsparse_index_base_b,@function
_ZN9rocsparseL22bsrxmvn_general_kernelILj256ELj16EfliaafEEv20rocsparse_direction_NS_24const_host_device_scalarIT1_EET3_PKS5_PKT2_SA_S7_PKT4_S5_PKT5_S4_PT6_21rocsparse_index_base_b: ; @_ZN9rocsparseL22bsrxmvn_general_kernelILj256ELj16EfliaafEEv20rocsparse_direction_NS_24const_host_device_scalarIT1_EET3_PKS5_PKT2_SA_S7_PKT4_S5_PKT5_S4_PT6_21rocsparse_index_base_b
; %bb.0:
	s_load_dwordx2 s[16:17], s[4:5], 0x60
	s_load_dwordx2 s[18:19], s[4:5], 0x8
	;; [unrolled: 1-line block ×3, first 2 shown]
	s_waitcnt lgkmcnt(0)
	s_bitcmp1_b32 s17, 0
	s_cselect_b64 s[2:3], -1, 0
	s_xor_b64 s[0:1], s[2:3], -1
	s_and_b64 vcc, exec, s[2:3]
	s_cbranch_vccnz .LBB49_2
; %bb.1:
	s_load_dword s18, s[18:19], 0x0
.LBB49_2:
	s_andn2_b64 vcc, exec, s[0:1]
	s_cbranch_vccnz .LBB49_4
; %bb.3:
	s_load_dword s20, s[20:21], 0x0
.LBB49_4:
	s_waitcnt lgkmcnt(0)
	v_cmp_neq_f32_e64 s[0:1], s18, 0
	v_cmp_neq_f32_e64 s[2:3], s20, 1.0
	s_or_b64 s[0:1], s[0:1], s[2:3]
	s_andn2_b64 vcc, exec, s[0:1]
	s_cbranch_vccnz .LBB49_26
; %bb.5:
	s_load_dwordx2 s[0:1], s[4:5], 0x18
	s_waitcnt lgkmcnt(0)
	s_cmp_eq_u64 s[0:1], 0
	s_cbranch_scc1 .LBB49_7
; %bb.6:
	s_ashr_i32 s7, s6, 31
	s_lshl_b64 s[2:3], s[6:7], 2
	s_add_u32 s0, s0, s2
	s_addc_u32 s1, s1, s3
	s_load_dword s0, s[0:1], 0x0
	s_waitcnt lgkmcnt(0)
	s_sub_i32 s6, s0, s16
.LBB49_7:
	s_load_dword s17, s[4:5], 0x40
	v_lshrrev_b32_e32 v2, 4, v0
	s_waitcnt lgkmcnt(0)
	v_cmp_gt_i32_e32 vcc, s17, v2
	s_and_saveexec_b64 s[0:1], vcc
	s_cbranch_execz .LBB49_26
; %bb.8:
	s_load_dwordx8 s[8:15], s[4:5], 0x20
	s_ashr_i32 s7, s6, 31
	s_lshl_b64 s[0:1], s[6:7], 3
	s_mul_hi_u32 s19, s17, s17
	s_mul_i32 s21, s17, s17
	s_waitcnt lgkmcnt(0)
	s_add_u32 s2, s8, s0
	s_addc_u32 s3, s9, s1
	s_load_dwordx2 s[34:35], s[2:3], 0x0
	s_load_dwordx2 s[8:9], s[4:5], 0x58
	;; [unrolled: 1-line block ×3, first 2 shown]
	v_and_b32_e32 v0, 15, v0
	s_mov_b64 s[24:25], 0
	s_waitcnt lgkmcnt(0)
	s_sub_u32 s26, s34, s16
	s_subb_u32 s27, s35, 0
	s_add_u32 s2, s2, 8
	s_addc_u32 s3, s3, 0
	s_add_u32 s0, s10, s0
	s_addc_u32 s1, s11, s1
	s_cmp_eq_u64 s[10:11], 0
	s_cselect_b32 s1, s3, s1
	s_cselect_b32 s0, s2, s0
	s_load_dwordx2 s[2:3], s[0:1], 0x0
	s_load_dword s7, s[4:5], 0x0
	s_mul_i32 s4, s26, s19
	s_mul_hi_u32 s5, s26, s21
	v_cmp_gt_u32_e64 s[0:1], s17, v0
	s_waitcnt lgkmcnt(0)
	s_sub_u32 s10, s2, s16
	v_pk_mov_b32 v[4:5], s[2:3], s[2:3] op_sel:[0,1]
	s_subb_u32 s11, s3, 0
	s_cmp_lg_u32 s7, 0
	v_cmp_lt_i64_e32 vcc, s[34:35], v[4:5]
	s_cselect_b64 s[28:29], -1, 0
	s_add_i32 s4, s5, s4
	s_mul_i32 s5, s27, s21
	v_cndmask_b32_e64 v3, 0, 1, vcc
	v_cmp_eq_u32_e64 s[2:3], 15, v0
	v_cmp_eq_f32_e64 s[30:31], s20, 0
	s_mul_i32 s33, s6, s17
	s_add_i32 s40, s4, s5
	s_mul_i32 s41, s26, s21
	v_mul_lo_u32 v12, s17, v2
	s_lshl_b32 s42, s17, 4
	v_mov_b32_e32 v1, 0
	v_mul_lo_u32 v13, s17, v0
	v_cmp_ne_u32_e64 s[4:5], 1, v3
	s_branch .LBB49_10
.LBB49_9:                               ;   in Loop: Header=BB49_10 Depth=1
	s_or_b64 exec, exec, s[6:7]
	v_add_u32_e32 v2, 16, v2
	v_cmp_le_i32_e32 vcc, s17, v2
	s_or_b64 s[24:25], vcc, s[24:25]
	v_add_u32_e32 v12, s42, v12
	s_andn2_b64 exec, exec, s[24:25]
	s_cbranch_execz .LBB49_26
.LBB49_10:                              ; =>This Loop Header: Depth=1
                                        ;     Child Loop BB49_14 Depth 2
                                        ;       Child Loop BB49_17 Depth 3
	s_and_b64 vcc, exec, s[4:5]
	v_mov_b32_e32 v14, 0
	s_cbranch_vccnz .LBB49_21
; %bb.11:                               ;   in Loop: Header=BB49_10 Depth=1
	v_ashrrev_i32_e32 v3, 31, v12
	v_mov_b32_e32 v5, s40
	v_add_co_u32_e32 v4, vcc, s41, v12
	v_addc_co_u32_e32 v5, vcc, v5, v3, vcc
	v_ashrrev_i32_e32 v3, 31, v2
	v_mov_b32_e32 v14, 0
	s_mov_b64 s[6:7], s[26:27]
	s_branch .LBB49_14
.LBB49_12:                              ;   in Loop: Header=BB49_14 Depth=2
	s_or_b64 exec, exec, s[36:37]
.LBB49_13:                              ;   in Loop: Header=BB49_14 Depth=2
	s_or_b64 exec, exec, s[34:35]
	s_add_u32 s6, s6, 1
	v_mov_b32_e32 v6, s19
	v_add_co_u32_e32 v4, vcc, s21, v4
	s_addc_u32 s7, s7, 0
	v_addc_co_u32_e32 v5, vcc, v5, v6, vcc
	v_pk_mov_b32 v[6:7], s[10:11], s[10:11] op_sel:[0,1]
	v_cmp_ge_i64_e32 vcc, s[6:7], v[6:7]
	s_cbranch_vccnz .LBB49_21
.LBB49_14:                              ;   Parent Loop BB49_10 Depth=1
                                        ; =>  This Loop Header: Depth=2
                                        ;       Child Loop BB49_17 Depth 3
	s_and_saveexec_b64 s[34:35], s[0:1]
	s_cbranch_execz .LBB49_13
; %bb.15:                               ;   in Loop: Header=BB49_14 Depth=2
	s_lshl_b64 s[36:37], s[6:7], 2
	s_add_u32 s36, s12, s36
	s_addc_u32 s37, s13, s37
	s_load_dword s36, s[36:37], 0x0
	s_mul_i32 s37, s19, s6
	s_mul_i32 s38, s21, s7
	v_mov_b32_e32 v6, s6
	s_add_i32 s38, s38, s37
	s_waitcnt lgkmcnt(0)
	s_sub_i32 s39, s36, s16
	v_mad_u64_u32 v[6:7], s[36:37], s21, v6, v[2:3]
	v_add_u32_e32 v7, s38, v7
	s_mul_i32 s43, s39, s17
	s_mov_b64 s[36:37], 0
	v_mov_b32_e32 v15, v13
	v_pk_mov_b32 v[8:9], v[0:1], v[0:1] op_sel:[0,1]
	s_branch .LBB49_17
.LBB49_16:                              ;   in Loop: Header=BB49_17 Depth=3
	v_mov_b32_e32 v16, s15
	v_add_co_u32_e32 v10, vcc, s14, v10
	v_addc_co_u32_e32 v11, vcc, v16, v11, vcc
	global_load_sbyte v16, v[10:11], off
	v_add_u32_e32 v10, s43, v8
	v_ashrrev_i32_e32 v11, 31, v10
	v_mov_b32_e32 v17, s23
	v_add_co_u32_e32 v10, vcc, s22, v10
	v_addc_co_u32_e32 v11, vcc, v17, v11, vcc
	global_load_sbyte v10, v[10:11], off
	v_add_co_u32_e32 v8, vcc, 16, v8
	v_addc_co_u32_e32 v9, vcc, 0, v9, vcc
	v_cmp_le_i32_e32 vcc, s17, v8
	s_or_b64 s[36:37], vcc, s[36:37]
	v_add_u32_e32 v15, s42, v15
	s_waitcnt vmcnt(1)
	v_cvt_f32_i32_e32 v11, v16
	s_waitcnt vmcnt(0)
	v_cvt_f32_i32_e32 v10, v10
	v_fmac_f32_e32 v14, v11, v10
	s_andn2_b64 exec, exec, s[36:37]
	s_cbranch_execz .LBB49_12
.LBB49_17:                              ;   Parent Loop BB49_10 Depth=1
                                        ;     Parent Loop BB49_14 Depth=2
                                        ; =>    This Inner Loop Header: Depth=3
	s_and_b64 vcc, exec, s[28:29]
	s_cbranch_vccz .LBB49_19
; %bb.18:                               ;   in Loop: Header=BB49_17 Depth=3
	v_ashrrev_i32_e32 v11, 31, v15
	v_add_co_u32_e32 v10, vcc, v6, v15
	v_addc_co_u32_e32 v11, vcc, v7, v11, vcc
	s_cbranch_execnz .LBB49_16
	s_branch .LBB49_20
.LBB49_19:                              ;   in Loop: Header=BB49_17 Depth=3
                                        ; implicit-def: $vgpr10_vgpr11
.LBB49_20:                              ;   in Loop: Header=BB49_17 Depth=3
	v_add_co_u32_e32 v10, vcc, v4, v8
	v_addc_co_u32_e32 v11, vcc, v5, v9, vcc
	s_branch .LBB49_16
.LBB49_21:                              ;   in Loop: Header=BB49_10 Depth=1
	s_nop 0
	v_mov_b32_dpp v3, v14 row_shr:1 row_mask:0xf bank_mask:0xf
	v_add_f32_e32 v3, v14, v3
	s_nop 1
	v_mov_b32_dpp v4, v3 row_shr:2 row_mask:0xf bank_mask:0xf
	v_add_f32_e32 v3, v3, v4
	;; [unrolled: 3-line block ×3, first 2 shown]
	s_nop 1
	v_mov_b32_dpp v4, v3 row_shr:8 row_mask:0xf bank_mask:0xc
	s_and_saveexec_b64 s[6:7], s[2:3]
	s_cbranch_execz .LBB49_9
; %bb.22:                               ;   in Loop: Header=BB49_10 Depth=1
	v_add_f32_e32 v3, v3, v4
	v_add_u32_e32 v4, s33, v2
	s_and_b64 vcc, exec, s[30:31]
	v_mul_f32_e32 v3, s18, v3
	v_ashrrev_i32_e32 v5, 31, v4
	s_cbranch_vccz .LBB49_24
; %bb.23:                               ;   in Loop: Header=BB49_10 Depth=1
	v_lshlrev_b64 v[6:7], 2, v[4:5]
	v_mov_b32_e32 v8, s9
	v_add_co_u32_e32 v6, vcc, s8, v6
	v_addc_co_u32_e32 v7, vcc, v8, v7, vcc
	global_store_dword v[6:7], v3, off
	s_cbranch_execnz .LBB49_9
	s_branch .LBB49_25
.LBB49_24:                              ;   in Loop: Header=BB49_10 Depth=1
.LBB49_25:                              ;   in Loop: Header=BB49_10 Depth=1
	v_lshlrev_b64 v[4:5], 2, v[4:5]
	v_mov_b32_e32 v6, s9
	v_add_co_u32_e32 v4, vcc, s8, v4
	v_addc_co_u32_e32 v5, vcc, v6, v5, vcc
	global_load_dword v6, v[4:5], off
	s_waitcnt vmcnt(0)
	v_fmac_f32_e32 v3, s20, v6
	global_store_dword v[4:5], v3, off
	s_branch .LBB49_9
.LBB49_26:
	s_endpgm
	.section	.rodata,"a",@progbits
	.p2align	6, 0x0
	.amdhsa_kernel _ZN9rocsparseL22bsrxmvn_general_kernelILj256ELj16EfliaafEEv20rocsparse_direction_NS_24const_host_device_scalarIT1_EET3_PKS5_PKT2_SA_S7_PKT4_S5_PKT5_S4_PT6_21rocsparse_index_base_b
		.amdhsa_group_segment_fixed_size 0
		.amdhsa_private_segment_fixed_size 0
		.amdhsa_kernarg_size 104
		.amdhsa_user_sgpr_count 6
		.amdhsa_user_sgpr_private_segment_buffer 1
		.amdhsa_user_sgpr_dispatch_ptr 0
		.amdhsa_user_sgpr_queue_ptr 0
		.amdhsa_user_sgpr_kernarg_segment_ptr 1
		.amdhsa_user_sgpr_dispatch_id 0
		.amdhsa_user_sgpr_flat_scratch_init 0
		.amdhsa_user_sgpr_kernarg_preload_length 0
		.amdhsa_user_sgpr_kernarg_preload_offset 0
		.amdhsa_user_sgpr_private_segment_size 0
		.amdhsa_uses_dynamic_stack 0
		.amdhsa_system_sgpr_private_segment_wavefront_offset 0
		.amdhsa_system_sgpr_workgroup_id_x 1
		.amdhsa_system_sgpr_workgroup_id_y 0
		.amdhsa_system_sgpr_workgroup_id_z 0
		.amdhsa_system_sgpr_workgroup_info 0
		.amdhsa_system_vgpr_workitem_id 0
		.amdhsa_next_free_vgpr 18
		.amdhsa_next_free_sgpr 44
		.amdhsa_accum_offset 20
		.amdhsa_reserve_vcc 1
		.amdhsa_reserve_flat_scratch 0
		.amdhsa_float_round_mode_32 0
		.amdhsa_float_round_mode_16_64 0
		.amdhsa_float_denorm_mode_32 3
		.amdhsa_float_denorm_mode_16_64 3
		.amdhsa_dx10_clamp 1
		.amdhsa_ieee_mode 1
		.amdhsa_fp16_overflow 0
		.amdhsa_tg_split 0
		.amdhsa_exception_fp_ieee_invalid_op 0
		.amdhsa_exception_fp_denorm_src 0
		.amdhsa_exception_fp_ieee_div_zero 0
		.amdhsa_exception_fp_ieee_overflow 0
		.amdhsa_exception_fp_ieee_underflow 0
		.amdhsa_exception_fp_ieee_inexact 0
		.amdhsa_exception_int_div_zero 0
	.end_amdhsa_kernel
	.section	.text._ZN9rocsparseL22bsrxmvn_general_kernelILj256ELj16EfliaafEEv20rocsparse_direction_NS_24const_host_device_scalarIT1_EET3_PKS5_PKT2_SA_S7_PKT4_S5_PKT5_S4_PT6_21rocsparse_index_base_b,"axG",@progbits,_ZN9rocsparseL22bsrxmvn_general_kernelILj256ELj16EfliaafEEv20rocsparse_direction_NS_24const_host_device_scalarIT1_EET3_PKS5_PKT2_SA_S7_PKT4_S5_PKT5_S4_PT6_21rocsparse_index_base_b,comdat
.Lfunc_end49:
	.size	_ZN9rocsparseL22bsrxmvn_general_kernelILj256ELj16EfliaafEEv20rocsparse_direction_NS_24const_host_device_scalarIT1_EET3_PKS5_PKT2_SA_S7_PKT4_S5_PKT5_S4_PT6_21rocsparse_index_base_b, .Lfunc_end49-_ZN9rocsparseL22bsrxmvn_general_kernelILj256ELj16EfliaafEEv20rocsparse_direction_NS_24const_host_device_scalarIT1_EET3_PKS5_PKT2_SA_S7_PKT4_S5_PKT5_S4_PT6_21rocsparse_index_base_b
                                        ; -- End function
	.section	.AMDGPU.csdata,"",@progbits
; Kernel info:
; codeLenInByte = 956
; NumSgprs: 48
; NumVgprs: 18
; NumAgprs: 0
; TotalNumVgprs: 18
; ScratchSize: 0
; MemoryBound: 0
; FloatMode: 240
; IeeeMode: 1
; LDSByteSize: 0 bytes/workgroup (compile time only)
; SGPRBlocks: 5
; VGPRBlocks: 2
; NumSGPRsForWavesPerEU: 48
; NumVGPRsForWavesPerEU: 18
; AccumOffset: 20
; Occupancy: 8
; WaveLimiterHint : 1
; COMPUTE_PGM_RSRC2:SCRATCH_EN: 0
; COMPUTE_PGM_RSRC2:USER_SGPR: 6
; COMPUTE_PGM_RSRC2:TRAP_HANDLER: 0
; COMPUTE_PGM_RSRC2:TGID_X_EN: 1
; COMPUTE_PGM_RSRC2:TGID_Y_EN: 0
; COMPUTE_PGM_RSRC2:TGID_Z_EN: 0
; COMPUTE_PGM_RSRC2:TIDIG_COMP_CNT: 0
; COMPUTE_PGM_RSRC3_GFX90A:ACCUM_OFFSET: 4
; COMPUTE_PGM_RSRC3_GFX90A:TG_SPLIT: 0
	.section	.text._ZN9rocsparseL22bsrxmvn_general_kernelILj1024ELj32EfliaafEEv20rocsparse_direction_NS_24const_host_device_scalarIT1_EET3_PKS5_PKT2_SA_S7_PKT4_S5_PKT5_S4_PT6_21rocsparse_index_base_b,"axG",@progbits,_ZN9rocsparseL22bsrxmvn_general_kernelILj1024ELj32EfliaafEEv20rocsparse_direction_NS_24const_host_device_scalarIT1_EET3_PKS5_PKT2_SA_S7_PKT4_S5_PKT5_S4_PT6_21rocsparse_index_base_b,comdat
	.globl	_ZN9rocsparseL22bsrxmvn_general_kernelILj1024ELj32EfliaafEEv20rocsparse_direction_NS_24const_host_device_scalarIT1_EET3_PKS5_PKT2_SA_S7_PKT4_S5_PKT5_S4_PT6_21rocsparse_index_base_b ; -- Begin function _ZN9rocsparseL22bsrxmvn_general_kernelILj1024ELj32EfliaafEEv20rocsparse_direction_NS_24const_host_device_scalarIT1_EET3_PKS5_PKT2_SA_S7_PKT4_S5_PKT5_S4_PT6_21rocsparse_index_base_b
	.p2align	8
	.type	_ZN9rocsparseL22bsrxmvn_general_kernelILj1024ELj32EfliaafEEv20rocsparse_direction_NS_24const_host_device_scalarIT1_EET3_PKS5_PKT2_SA_S7_PKT4_S5_PKT5_S4_PT6_21rocsparse_index_base_b,@function
_ZN9rocsparseL22bsrxmvn_general_kernelILj1024ELj32EfliaafEEv20rocsparse_direction_NS_24const_host_device_scalarIT1_EET3_PKS5_PKT2_SA_S7_PKT4_S5_PKT5_S4_PT6_21rocsparse_index_base_b: ; @_ZN9rocsparseL22bsrxmvn_general_kernelILj1024ELj32EfliaafEEv20rocsparse_direction_NS_24const_host_device_scalarIT1_EET3_PKS5_PKT2_SA_S7_PKT4_S5_PKT5_S4_PT6_21rocsparse_index_base_b
; %bb.0:
	s_load_dwordx2 s[16:17], s[4:5], 0x60
	s_load_dwordx2 s[18:19], s[4:5], 0x8
	;; [unrolled: 1-line block ×3, first 2 shown]
	s_waitcnt lgkmcnt(0)
	s_bitcmp1_b32 s17, 0
	s_cselect_b64 s[2:3], -1, 0
	s_xor_b64 s[0:1], s[2:3], -1
	s_and_b64 vcc, exec, s[2:3]
	s_cbranch_vccnz .LBB50_2
; %bb.1:
	s_load_dword s18, s[18:19], 0x0
.LBB50_2:
	s_andn2_b64 vcc, exec, s[0:1]
	s_cbranch_vccnz .LBB50_4
; %bb.3:
	s_load_dword s20, s[20:21], 0x0
.LBB50_4:
	s_waitcnt lgkmcnt(0)
	v_cmp_neq_f32_e64 s[0:1], s18, 0
	v_cmp_neq_f32_e64 s[2:3], s20, 1.0
	s_or_b64 s[0:1], s[0:1], s[2:3]
	s_andn2_b64 vcc, exec, s[0:1]
	s_cbranch_vccnz .LBB50_26
; %bb.5:
	s_load_dwordx2 s[0:1], s[4:5], 0x18
	s_waitcnt lgkmcnt(0)
	s_cmp_eq_u64 s[0:1], 0
	s_cbranch_scc1 .LBB50_7
; %bb.6:
	s_ashr_i32 s7, s6, 31
	s_lshl_b64 s[2:3], s[6:7], 2
	s_add_u32 s0, s0, s2
	s_addc_u32 s1, s1, s3
	s_load_dword s0, s[0:1], 0x0
	s_waitcnt lgkmcnt(0)
	s_sub_i32 s6, s0, s16
.LBB50_7:
	s_load_dword s17, s[4:5], 0x40
	v_lshrrev_b32_e32 v2, 5, v0
	s_waitcnt lgkmcnt(0)
	v_cmp_gt_i32_e32 vcc, s17, v2
	s_and_saveexec_b64 s[0:1], vcc
	s_cbranch_execz .LBB50_26
; %bb.8:
	s_load_dwordx8 s[8:15], s[4:5], 0x20
	s_ashr_i32 s7, s6, 31
	s_lshl_b64 s[0:1], s[6:7], 3
	s_mul_hi_u32 s19, s17, s17
	s_mul_i32 s21, s17, s17
	s_waitcnt lgkmcnt(0)
	s_add_u32 s2, s8, s0
	s_addc_u32 s3, s9, s1
	s_load_dwordx2 s[34:35], s[2:3], 0x0
	s_load_dwordx2 s[8:9], s[4:5], 0x58
	;; [unrolled: 1-line block ×3, first 2 shown]
	v_and_b32_e32 v0, 31, v0
	v_mov_b32_e32 v3, 0
	s_waitcnt lgkmcnt(0)
	s_sub_u32 s26, s34, s16
	s_subb_u32 s27, s35, 0
	s_add_u32 s2, s2, 8
	s_addc_u32 s3, s3, 0
	s_add_u32 s0, s10, s0
	s_addc_u32 s1, s11, s1
	s_cmp_eq_u64 s[10:11], 0
	s_cselect_b32 s1, s3, s1
	s_cselect_b32 s0, s2, s0
	s_load_dwordx2 s[2:3], s[0:1], 0x0
	s_load_dword s7, s[4:5], 0x0
	s_mul_i32 s4, s26, s19
	s_mul_hi_u32 s5, s26, s21
	s_mov_b64 s[24:25], 0
	s_waitcnt lgkmcnt(0)
	s_sub_u32 s10, s2, s16
	v_pk_mov_b32 v[4:5], s[2:3], s[2:3] op_sel:[0,1]
	s_subb_u32 s11, s3, 0
	s_cmp_lg_u32 s7, 0
	v_cmp_lt_i64_e32 vcc, s[34:35], v[4:5]
	s_cselect_b64 s[28:29], -1, 0
	s_add_i32 s4, s5, s4
	s_mul_i32 s5, s27, s21
	v_cndmask_b32_e64 v4, 0, 1, vcc
	v_cmp_gt_u32_e64 s[0:1], s17, v0
	v_cmp_eq_u32_e64 s[2:3], 31, v0
	v_cmp_eq_f32_e64 s[30:31], s20, 0
	s_mul_i32 s33, s6, s17
	s_add_i32 s40, s4, s5
	s_mul_i32 s41, s26, s21
	v_mul_lo_u32 v12, s17, v2
	s_lshl_b32 s42, s17, 5
	v_mov_b32_e32 v1, v3
	v_mul_lo_u32 v13, s17, v0
	v_cmp_ne_u32_e64 s[4:5], 1, v4
	s_branch .LBB50_10
.LBB50_9:                               ;   in Loop: Header=BB50_10 Depth=1
	s_or_b64 exec, exec, s[6:7]
	v_add_u32_e32 v2, 32, v2
	v_cmp_le_i32_e32 vcc, s17, v2
	s_or_b64 s[24:25], vcc, s[24:25]
	v_add_u32_e32 v12, s42, v12
	s_andn2_b64 exec, exec, s[24:25]
	s_cbranch_execz .LBB50_26
.LBB50_10:                              ; =>This Loop Header: Depth=1
                                        ;     Child Loop BB50_14 Depth 2
                                        ;       Child Loop BB50_17 Depth 3
	s_and_b64 vcc, exec, s[4:5]
	v_mov_b32_e32 v14, 0
	s_cbranch_vccnz .LBB50_21
; %bb.11:                               ;   in Loop: Header=BB50_10 Depth=1
	v_ashrrev_i32_e32 v5, 31, v12
	v_mov_b32_e32 v6, s40
	v_add_co_u32_e32 v4, vcc, s41, v12
	v_addc_co_u32_e32 v5, vcc, v6, v5, vcc
	v_mov_b32_e32 v14, 0
	s_mov_b64 s[6:7], s[26:27]
	s_branch .LBB50_14
.LBB50_12:                              ;   in Loop: Header=BB50_14 Depth=2
	s_or_b64 exec, exec, s[36:37]
.LBB50_13:                              ;   in Loop: Header=BB50_14 Depth=2
	s_or_b64 exec, exec, s[34:35]
	s_add_u32 s6, s6, 1
	v_mov_b32_e32 v6, s19
	v_add_co_u32_e32 v4, vcc, s21, v4
	s_addc_u32 s7, s7, 0
	v_addc_co_u32_e32 v5, vcc, v5, v6, vcc
	v_pk_mov_b32 v[6:7], s[10:11], s[10:11] op_sel:[0,1]
	v_cmp_ge_i64_e32 vcc, s[6:7], v[6:7]
	s_cbranch_vccnz .LBB50_21
.LBB50_14:                              ;   Parent Loop BB50_10 Depth=1
                                        ; =>  This Loop Header: Depth=2
                                        ;       Child Loop BB50_17 Depth 3
	s_and_saveexec_b64 s[34:35], s[0:1]
	s_cbranch_execz .LBB50_13
; %bb.15:                               ;   in Loop: Header=BB50_14 Depth=2
	s_lshl_b64 s[36:37], s[6:7], 2
	s_add_u32 s36, s12, s36
	s_addc_u32 s37, s13, s37
	s_load_dword s36, s[36:37], 0x0
	s_mul_i32 s37, s19, s6
	s_mul_i32 s38, s21, s7
	v_mov_b32_e32 v6, s6
	s_add_i32 s38, s38, s37
	s_waitcnt lgkmcnt(0)
	s_sub_i32 s39, s36, s16
	v_mad_u64_u32 v[6:7], s[36:37], s21, v6, v[2:3]
	v_add_u32_e32 v7, s38, v7
	s_mul_i32 s43, s39, s17
	s_mov_b64 s[36:37], 0
	v_mov_b32_e32 v15, v13
	v_pk_mov_b32 v[8:9], v[0:1], v[0:1] op_sel:[0,1]
	s_branch .LBB50_17
.LBB50_16:                              ;   in Loop: Header=BB50_17 Depth=3
	v_mov_b32_e32 v16, s15
	v_add_co_u32_e32 v10, vcc, s14, v10
	v_addc_co_u32_e32 v11, vcc, v16, v11, vcc
	global_load_sbyte v16, v[10:11], off
	v_add_u32_e32 v10, s43, v8
	v_ashrrev_i32_e32 v11, 31, v10
	v_mov_b32_e32 v17, s23
	v_add_co_u32_e32 v10, vcc, s22, v10
	v_addc_co_u32_e32 v11, vcc, v17, v11, vcc
	global_load_sbyte v10, v[10:11], off
	v_add_co_u32_e32 v8, vcc, 32, v8
	v_addc_co_u32_e32 v9, vcc, 0, v9, vcc
	v_cmp_le_i32_e32 vcc, s17, v8
	s_or_b64 s[36:37], vcc, s[36:37]
	v_add_u32_e32 v15, s42, v15
	s_waitcnt vmcnt(1)
	v_cvt_f32_i32_e32 v11, v16
	s_waitcnt vmcnt(0)
	v_cvt_f32_i32_e32 v10, v10
	v_fmac_f32_e32 v14, v11, v10
	s_andn2_b64 exec, exec, s[36:37]
	s_cbranch_execz .LBB50_12
.LBB50_17:                              ;   Parent Loop BB50_10 Depth=1
                                        ;     Parent Loop BB50_14 Depth=2
                                        ; =>    This Inner Loop Header: Depth=3
	s_and_b64 vcc, exec, s[28:29]
	s_cbranch_vccz .LBB50_19
; %bb.18:                               ;   in Loop: Header=BB50_17 Depth=3
	v_ashrrev_i32_e32 v11, 31, v15
	v_add_co_u32_e32 v10, vcc, v6, v15
	v_addc_co_u32_e32 v11, vcc, v7, v11, vcc
	s_cbranch_execnz .LBB50_16
	s_branch .LBB50_20
.LBB50_19:                              ;   in Loop: Header=BB50_17 Depth=3
                                        ; implicit-def: $vgpr10_vgpr11
.LBB50_20:                              ;   in Loop: Header=BB50_17 Depth=3
	v_add_co_u32_e32 v10, vcc, v4, v8
	v_addc_co_u32_e32 v11, vcc, v5, v9, vcc
	s_branch .LBB50_16
.LBB50_21:                              ;   in Loop: Header=BB50_10 Depth=1
	s_nop 0
	v_mov_b32_dpp v4, v14 row_shr:1 row_mask:0xf bank_mask:0xf
	v_add_f32_e32 v4, v14, v4
	s_nop 1
	v_mov_b32_dpp v5, v4 row_shr:2 row_mask:0xf bank_mask:0xf
	v_add_f32_e32 v4, v4, v5
	;; [unrolled: 3-line block ×4, first 2 shown]
	s_nop 1
	v_mov_b32_dpp v5, v4 row_bcast:15 row_mask:0xa bank_mask:0xf
	s_and_saveexec_b64 s[6:7], s[2:3]
	s_cbranch_execz .LBB50_9
; %bb.22:                               ;   in Loop: Header=BB50_10 Depth=1
	v_add_f32_e32 v4, v4, v5
	v_mul_f32_e32 v6, s18, v4
	v_add_u32_e32 v4, s33, v2
	s_and_b64 vcc, exec, s[30:31]
	v_ashrrev_i32_e32 v5, 31, v4
	s_cbranch_vccz .LBB50_24
; %bb.23:                               ;   in Loop: Header=BB50_10 Depth=1
	v_lshlrev_b64 v[8:9], 2, v[4:5]
	v_mov_b32_e32 v7, s9
	v_add_co_u32_e32 v8, vcc, s8, v8
	v_addc_co_u32_e32 v9, vcc, v7, v9, vcc
	global_store_dword v[8:9], v6, off
	s_cbranch_execnz .LBB50_9
	s_branch .LBB50_25
.LBB50_24:                              ;   in Loop: Header=BB50_10 Depth=1
.LBB50_25:                              ;   in Loop: Header=BB50_10 Depth=1
	v_lshlrev_b64 v[4:5], 2, v[4:5]
	v_mov_b32_e32 v7, s9
	v_add_co_u32_e32 v4, vcc, s8, v4
	v_addc_co_u32_e32 v5, vcc, v7, v5, vcc
	global_load_dword v7, v[4:5], off
	s_waitcnt vmcnt(0)
	v_fmac_f32_e32 v6, s20, v7
	global_store_dword v[4:5], v6, off
	s_branch .LBB50_9
.LBB50_26:
	s_endpgm
	.section	.rodata,"a",@progbits
	.p2align	6, 0x0
	.amdhsa_kernel _ZN9rocsparseL22bsrxmvn_general_kernelILj1024ELj32EfliaafEEv20rocsparse_direction_NS_24const_host_device_scalarIT1_EET3_PKS5_PKT2_SA_S7_PKT4_S5_PKT5_S4_PT6_21rocsparse_index_base_b
		.amdhsa_group_segment_fixed_size 0
		.amdhsa_private_segment_fixed_size 0
		.amdhsa_kernarg_size 104
		.amdhsa_user_sgpr_count 6
		.amdhsa_user_sgpr_private_segment_buffer 1
		.amdhsa_user_sgpr_dispatch_ptr 0
		.amdhsa_user_sgpr_queue_ptr 0
		.amdhsa_user_sgpr_kernarg_segment_ptr 1
		.amdhsa_user_sgpr_dispatch_id 0
		.amdhsa_user_sgpr_flat_scratch_init 0
		.amdhsa_user_sgpr_kernarg_preload_length 0
		.amdhsa_user_sgpr_kernarg_preload_offset 0
		.amdhsa_user_sgpr_private_segment_size 0
		.amdhsa_uses_dynamic_stack 0
		.amdhsa_system_sgpr_private_segment_wavefront_offset 0
		.amdhsa_system_sgpr_workgroup_id_x 1
		.amdhsa_system_sgpr_workgroup_id_y 0
		.amdhsa_system_sgpr_workgroup_id_z 0
		.amdhsa_system_sgpr_workgroup_info 0
		.amdhsa_system_vgpr_workitem_id 0
		.amdhsa_next_free_vgpr 18
		.amdhsa_next_free_sgpr 44
		.amdhsa_accum_offset 20
		.amdhsa_reserve_vcc 1
		.amdhsa_reserve_flat_scratch 0
		.amdhsa_float_round_mode_32 0
		.amdhsa_float_round_mode_16_64 0
		.amdhsa_float_denorm_mode_32 3
		.amdhsa_float_denorm_mode_16_64 3
		.amdhsa_dx10_clamp 1
		.amdhsa_ieee_mode 1
		.amdhsa_fp16_overflow 0
		.amdhsa_tg_split 0
		.amdhsa_exception_fp_ieee_invalid_op 0
		.amdhsa_exception_fp_denorm_src 0
		.amdhsa_exception_fp_ieee_div_zero 0
		.amdhsa_exception_fp_ieee_overflow 0
		.amdhsa_exception_fp_ieee_underflow 0
		.amdhsa_exception_fp_ieee_inexact 0
		.amdhsa_exception_int_div_zero 0
	.end_amdhsa_kernel
	.section	.text._ZN9rocsparseL22bsrxmvn_general_kernelILj1024ELj32EfliaafEEv20rocsparse_direction_NS_24const_host_device_scalarIT1_EET3_PKS5_PKT2_SA_S7_PKT4_S5_PKT5_S4_PT6_21rocsparse_index_base_b,"axG",@progbits,_ZN9rocsparseL22bsrxmvn_general_kernelILj1024ELj32EfliaafEEv20rocsparse_direction_NS_24const_host_device_scalarIT1_EET3_PKS5_PKT2_SA_S7_PKT4_S5_PKT5_S4_PT6_21rocsparse_index_base_b,comdat
.Lfunc_end50:
	.size	_ZN9rocsparseL22bsrxmvn_general_kernelILj1024ELj32EfliaafEEv20rocsparse_direction_NS_24const_host_device_scalarIT1_EET3_PKS5_PKT2_SA_S7_PKT4_S5_PKT5_S4_PT6_21rocsparse_index_base_b, .Lfunc_end50-_ZN9rocsparseL22bsrxmvn_general_kernelILj1024ELj32EfliaafEEv20rocsparse_direction_NS_24const_host_device_scalarIT1_EET3_PKS5_PKT2_SA_S7_PKT4_S5_PKT5_S4_PT6_21rocsparse_index_base_b
                                        ; -- End function
	.section	.AMDGPU.csdata,"",@progbits
; Kernel info:
; codeLenInByte = 972
; NumSgprs: 48
; NumVgprs: 18
; NumAgprs: 0
; TotalNumVgprs: 18
; ScratchSize: 0
; MemoryBound: 0
; FloatMode: 240
; IeeeMode: 1
; LDSByteSize: 0 bytes/workgroup (compile time only)
; SGPRBlocks: 5
; VGPRBlocks: 2
; NumSGPRsForWavesPerEU: 48
; NumVGPRsForWavesPerEU: 18
; AccumOffset: 20
; Occupancy: 8
; WaveLimiterHint : 1
; COMPUTE_PGM_RSRC2:SCRATCH_EN: 0
; COMPUTE_PGM_RSRC2:USER_SGPR: 6
; COMPUTE_PGM_RSRC2:TRAP_HANDLER: 0
; COMPUTE_PGM_RSRC2:TGID_X_EN: 1
; COMPUTE_PGM_RSRC2:TGID_Y_EN: 0
; COMPUTE_PGM_RSRC2:TGID_Z_EN: 0
; COMPUTE_PGM_RSRC2:TIDIG_COMP_CNT: 0
; COMPUTE_PGM_RSRC3_GFX90A:ACCUM_OFFSET: 4
; COMPUTE_PGM_RSRC3_GFX90A:TG_SPLIT: 0
	.section	.text._ZN9rocsparseL22bsrxmvn_general_kernelILj64ELj8EfllaafEEv20rocsparse_direction_NS_24const_host_device_scalarIT1_EET3_PKS5_PKT2_SA_S7_PKT4_S5_PKT5_S4_PT6_21rocsparse_index_base_b,"axG",@progbits,_ZN9rocsparseL22bsrxmvn_general_kernelILj64ELj8EfllaafEEv20rocsparse_direction_NS_24const_host_device_scalarIT1_EET3_PKS5_PKT2_SA_S7_PKT4_S5_PKT5_S4_PT6_21rocsparse_index_base_b,comdat
	.globl	_ZN9rocsparseL22bsrxmvn_general_kernelILj64ELj8EfllaafEEv20rocsparse_direction_NS_24const_host_device_scalarIT1_EET3_PKS5_PKT2_SA_S7_PKT4_S5_PKT5_S4_PT6_21rocsparse_index_base_b ; -- Begin function _ZN9rocsparseL22bsrxmvn_general_kernelILj64ELj8EfllaafEEv20rocsparse_direction_NS_24const_host_device_scalarIT1_EET3_PKS5_PKT2_SA_S7_PKT4_S5_PKT5_S4_PT6_21rocsparse_index_base_b
	.p2align	8
	.type	_ZN9rocsparseL22bsrxmvn_general_kernelILj64ELj8EfllaafEEv20rocsparse_direction_NS_24const_host_device_scalarIT1_EET3_PKS5_PKT2_SA_S7_PKT4_S5_PKT5_S4_PT6_21rocsparse_index_base_b,@function
_ZN9rocsparseL22bsrxmvn_general_kernelILj64ELj8EfllaafEEv20rocsparse_direction_NS_24const_host_device_scalarIT1_EET3_PKS5_PKT2_SA_S7_PKT4_S5_PKT5_S4_PT6_21rocsparse_index_base_b: ; @_ZN9rocsparseL22bsrxmvn_general_kernelILj64ELj8EfllaafEEv20rocsparse_direction_NS_24const_host_device_scalarIT1_EET3_PKS5_PKT2_SA_S7_PKT4_S5_PKT5_S4_PT6_21rocsparse_index_base_b
; %bb.0:
	s_load_dwordx2 s[16:17], s[4:5], 0x60
	s_load_dwordx2 s[18:19], s[4:5], 0x8
	;; [unrolled: 1-line block ×3, first 2 shown]
	s_waitcnt lgkmcnt(0)
	s_bitcmp1_b32 s17, 0
	s_cselect_b64 s[2:3], -1, 0
	s_xor_b64 s[0:1], s[2:3], -1
	s_and_b64 vcc, exec, s[2:3]
	s_cbranch_vccnz .LBB51_2
; %bb.1:
	s_load_dword s18, s[18:19], 0x0
.LBB51_2:
	s_andn2_b64 vcc, exec, s[0:1]
	s_cbranch_vccnz .LBB51_4
; %bb.3:
	s_load_dword s20, s[20:21], 0x0
.LBB51_4:
	s_waitcnt lgkmcnt(0)
	v_cmp_neq_f32_e64 s[0:1], s18, 0
	v_cmp_neq_f32_e64 s[2:3], s20, 1.0
	s_or_b64 s[0:1], s[0:1], s[2:3]
	s_andn2_b64 vcc, exec, s[0:1]
	s_mov_b32 s7, 0
	s_cbranch_vccnz .LBB51_26
; %bb.5:
	s_load_dwordx2 s[0:1], s[4:5], 0x18
	s_waitcnt lgkmcnt(0)
	s_cmp_eq_u64 s[0:1], 0
	s_cbranch_scc1 .LBB51_7
; %bb.6:
	s_lshl_b64 s[2:3], s[6:7], 3
	s_add_u32 s0, s0, s2
	s_addc_u32 s1, s1, s3
	s_load_dwordx2 s[0:1], s[0:1], 0x0
	s_waitcnt lgkmcnt(0)
	s_sub_u32 s6, s0, s16
	s_subb_u32 s7, s1, 0
.LBB51_7:
	s_load_dwordx2 s[22:23], s[4:5], 0x40
	v_lshrrev_b32_e32 v2, 3, v0
	v_mov_b32_e32 v3, 0
	s_waitcnt lgkmcnt(0)
	v_cmp_gt_i64_e32 vcc, s[22:23], v[2:3]
	s_and_saveexec_b64 s[0:1], vcc
	s_cbranch_execz .LBB51_26
; %bb.8:
	s_load_dwordx8 s[8:15], s[4:5], 0x20
	s_lshl_b64 s[0:1], s[6:7], 3
	v_and_b32_e32 v0, 7, v0
	v_mov_b32_e32 v1, v3
	s_mov_b64 s[24:25], 0
	s_waitcnt lgkmcnt(0)
	s_add_u32 s2, s8, s0
	s_addc_u32 s3, s9, s1
	s_load_dwordx2 s[34:35], s[2:3], 0x0
	s_load_dwordx2 s[36:37], s[4:5], 0x58
	;; [unrolled: 1-line block ×3, first 2 shown]
	s_mul_i32 s33, s22, s22
	s_waitcnt lgkmcnt(0)
	s_sub_u32 s26, s34, s16
	s_subb_u32 s27, s35, 0
	s_add_u32 s2, s2, 8
	s_addc_u32 s3, s3, 0
	s_add_u32 s0, s10, s0
	s_addc_u32 s1, s11, s1
	s_cmp_eq_u64 s[10:11], 0
	s_cselect_b32 s1, s3, s1
	s_cselect_b32 s0, s2, s0
	s_load_dwordx2 s[30:31], s[0:1], 0x0
	s_load_dword s17, s[4:5], 0x0
	s_mul_i32 s4, s6, s23
	s_mul_hi_u32 s5, s6, s22
	v_mov_b32_e32 v4, s26
	s_waitcnt lgkmcnt(0)
	s_sub_u32 s28, s30, s16
	s_subb_u32 s29, s31, 0
	s_cmp_lg_u32 s17, 0
	v_pk_mov_b32 v[6:7], s[30:31], s[30:31] op_sel:[0,1]
	s_cselect_b64 s[30:31], -1, 0
	s_add_i32 s4, s5, s4
	s_mul_i32 s5, s7, s22
	s_add_i32 s5, s4, s5
	s_mul_i32 s4, s6, s22
	s_lshl_b64 s[4:5], s[4:5], 2
	s_add_u32 s17, s36, s4
	s_addc_u32 s19, s37, s5
	s_mul_i32 s4, s23, s26
	s_mul_i32 s5, s22, s27
	s_add_i32 s6, s5, s4
	v_mad_u64_u32 v[4:5], s[4:5], s22, v4, v[2:3]
	v_add_u32_e32 v5, s6, v5
	v_mul_lo_u32 v8, s22, v5
	v_mul_lo_u32 v9, s23, v4
	v_mad_u64_u32 v[4:5], s[4:5], s22, v4, 0
	s_mul_i32 s4, s22, s23
	s_mul_hi_u32 s5, s22, s22
	v_cmp_lt_i64_e32 vcc, s[34:35], v[6:7]
	s_add_i32 s5, s5, s4
	v_cndmask_b32_e64 v6, 0, 1, vcc
	v_cmp_eq_f32_e64 s[10:11], s20, 0
	v_cmp_gt_u64_e64 s[0:1], s[22:23], v[0:1]
	v_cmp_eq_u32_e64 s[2:3], 7, v0
	v_add3_u32 v5, v5, v8, v9
	s_lshl_b64 s[6:7], s[22:23], 3
	s_add_i32 s21, s5, s4
	v_cmp_ne_u32_e64 s[4:5], 1, v6
	s_branch .LBB51_10
.LBB51_9:                               ;   in Loop: Header=BB51_10 Depth=1
	s_or_b64 exec, exec, s[34:35]
	v_add_co_u32_e32 v2, vcc, 8, v2
	v_addc_co_u32_e32 v3, vcc, 0, v3, vcc
	v_cmp_le_i64_e32 vcc, s[22:23], v[2:3]
	v_mov_b32_e32 v6, s7
	s_or_b64 s[24:25], vcc, s[24:25]
	v_add_co_u32_e32 v4, vcc, s6, v4
	v_addc_co_u32_e32 v5, vcc, v5, v6, vcc
	s_andn2_b64 exec, exec, s[24:25]
	s_cbranch_execz .LBB51_26
.LBB51_10:                              ; =>This Loop Header: Depth=1
                                        ;     Child Loop BB51_14 Depth 2
                                        ;       Child Loop BB51_17 Depth 3
	s_and_b64 vcc, exec, s[4:5]
	v_mov_b32_e32 v12, 0
	s_cbranch_vccnz .LBB51_21
; %bb.11:                               ;   in Loop: Header=BB51_10 Depth=1
	v_mov_b32_e32 v12, 0
	v_pk_mov_b32 v[6:7], v[4:5], v[4:5] op_sel:[0,1]
	s_mov_b64 s[34:35], s[26:27]
	s_branch .LBB51_14
.LBB51_12:                              ;   in Loop: Header=BB51_14 Depth=2
	s_or_b64 exec, exec, s[38:39]
.LBB51_13:                              ;   in Loop: Header=BB51_14 Depth=2
	s_or_b64 exec, exec, s[36:37]
	s_add_u32 s34, s34, 1
	v_mov_b32_e32 v8, s21
	v_add_co_u32_e32 v6, vcc, s33, v6
	s_addc_u32 s35, s35, 0
	v_addc_co_u32_e32 v7, vcc, v7, v8, vcc
	v_pk_mov_b32 v[8:9], s[28:29], s[28:29] op_sel:[0,1]
	v_cmp_ge_i64_e32 vcc, s[34:35], v[8:9]
	s_cbranch_vccnz .LBB51_21
.LBB51_14:                              ;   Parent Loop BB51_10 Depth=1
                                        ; =>  This Loop Header: Depth=2
                                        ;       Child Loop BB51_17 Depth 3
	s_and_saveexec_b64 s[36:37], s[0:1]
	s_cbranch_execz .LBB51_13
; %bb.15:                               ;   in Loop: Header=BB51_14 Depth=2
	s_lshl_b64 s[38:39], s[34:35], 3
	s_add_u32 s38, s12, s38
	s_addc_u32 s39, s13, s39
	s_load_dwordx2 s[38:39], s[38:39], 0x0
	s_mul_i32 s40, s34, s23
	s_mul_hi_u32 s41, s34, s22
	s_mul_i32 s42, s35, s22
	s_mul_i32 s43, s34, s22
	s_waitcnt lgkmcnt(0)
	s_sub_u32 s38, s38, s16
	s_subb_u32 s39, s39, 0
	s_add_i32 s40, s41, s40
	s_add_i32 s42, s40, s42
	s_mul_i32 s40, s38, s23
	s_mul_hi_u32 s41, s38, s22
	s_add_i32 s40, s41, s40
	s_mul_i32 s39, s39, s22
	s_add_i32 s40, s40, s39
	s_mul_i32 s38, s38, s22
	s_add_u32 s44, s8, s38
	s_addc_u32 s45, s9, s40
	s_mov_b64 s[38:39], 0
	v_pk_mov_b32 v[8:9], v[0:1], v[0:1] op_sel:[0,1]
	s_branch .LBB51_17
.LBB51_16:                              ;   in Loop: Header=BB51_17 Depth=3
	v_mov_b32_e32 v13, s15
	v_add_co_u32_e32 v10, vcc, s14, v10
	v_addc_co_u32_e32 v11, vcc, v13, v11, vcc
	global_load_sbyte v13, v[10:11], off
	v_mov_b32_e32 v11, s45
	v_add_co_u32_e32 v10, vcc, s44, v8
	v_addc_co_u32_e32 v11, vcc, v11, v9, vcc
	global_load_sbyte v10, v[10:11], off
	v_add_co_u32_e32 v8, vcc, 8, v8
	v_addc_co_u32_e32 v9, vcc, 0, v9, vcc
	v_cmp_le_i64_e32 vcc, s[22:23], v[8:9]
	s_or_b64 s[38:39], vcc, s[38:39]
	s_waitcnt vmcnt(1)
	v_cvt_f32_i32_e32 v11, v13
	s_waitcnt vmcnt(0)
	v_cvt_f32_i32_e32 v10, v10
	v_fmac_f32_e32 v12, v11, v10
	s_andn2_b64 exec, exec, s[38:39]
	s_cbranch_execz .LBB51_12
.LBB51_17:                              ;   Parent Loop BB51_10 Depth=1
                                        ;     Parent Loop BB51_14 Depth=2
                                        ; =>    This Inner Loop Header: Depth=3
	s_and_b64 vcc, exec, s[30:31]
	s_cbranch_vccz .LBB51_19
; %bb.18:                               ;   in Loop: Header=BB51_17 Depth=3
	v_mov_b32_e32 v10, s42
	v_add_co_u32_e32 v11, vcc, s43, v8
	v_addc_co_u32_e32 v10, vcc, v9, v10, vcc
	v_mul_lo_u32 v13, v11, s23
	v_mul_lo_u32 v14, v10, s22
	v_mad_u64_u32 v[10:11], s[40:41], v11, s22, v[2:3]
	v_add3_u32 v11, v14, v11, v13
	s_cbranch_execnz .LBB51_16
	s_branch .LBB51_20
.LBB51_19:                              ;   in Loop: Header=BB51_17 Depth=3
                                        ; implicit-def: $vgpr10_vgpr11
.LBB51_20:                              ;   in Loop: Header=BB51_17 Depth=3
	v_add_co_u32_e32 v10, vcc, v6, v8
	v_addc_co_u32_e32 v11, vcc, v7, v9, vcc
	s_branch .LBB51_16
.LBB51_21:                              ;   in Loop: Header=BB51_10 Depth=1
	s_nop 0
	v_mov_b32_dpp v6, v12 row_shr:1 row_mask:0xf bank_mask:0xf
	v_add_f32_e32 v6, v12, v6
	s_nop 1
	v_mov_b32_dpp v7, v6 row_shr:2 row_mask:0xf bank_mask:0xf
	v_add_f32_e32 v6, v6, v7
	s_nop 1
	v_mov_b32_dpp v7, v6 row_shr:4 row_mask:0xf bank_mask:0xe
	s_and_saveexec_b64 s[34:35], s[2:3]
	s_cbranch_execz .LBB51_9
; %bb.22:                               ;   in Loop: Header=BB51_10 Depth=1
	v_add_f32_e32 v6, v6, v7
	s_and_b64 vcc, exec, s[10:11]
	v_mul_f32_e32 v8, s18, v6
	v_lshlrev_b64 v[6:7], 2, v[2:3]
	s_cbranch_vccz .LBB51_24
; %bb.23:                               ;   in Loop: Header=BB51_10 Depth=1
	v_mov_b32_e32 v9, s19
	v_add_co_u32_e32 v10, vcc, s17, v6
	v_addc_co_u32_e32 v11, vcc, v9, v7, vcc
	global_store_dword v[10:11], v8, off
	s_cbranch_execnz .LBB51_9
	s_branch .LBB51_25
.LBB51_24:                              ;   in Loop: Header=BB51_10 Depth=1
.LBB51_25:                              ;   in Loop: Header=BB51_10 Depth=1
	v_mov_b32_e32 v9, s19
	v_add_co_u32_e32 v6, vcc, s17, v6
	v_addc_co_u32_e32 v7, vcc, v9, v7, vcc
	global_load_dword v9, v[6:7], off
	s_waitcnt vmcnt(0)
	v_fmac_f32_e32 v8, s20, v9
	global_store_dword v[6:7], v8, off
	s_branch .LBB51_9
.LBB51_26:
	s_endpgm
	.section	.rodata,"a",@progbits
	.p2align	6, 0x0
	.amdhsa_kernel _ZN9rocsparseL22bsrxmvn_general_kernelILj64ELj8EfllaafEEv20rocsparse_direction_NS_24const_host_device_scalarIT1_EET3_PKS5_PKT2_SA_S7_PKT4_S5_PKT5_S4_PT6_21rocsparse_index_base_b
		.amdhsa_group_segment_fixed_size 0
		.amdhsa_private_segment_fixed_size 0
		.amdhsa_kernarg_size 104
		.amdhsa_user_sgpr_count 6
		.amdhsa_user_sgpr_private_segment_buffer 1
		.amdhsa_user_sgpr_dispatch_ptr 0
		.amdhsa_user_sgpr_queue_ptr 0
		.amdhsa_user_sgpr_kernarg_segment_ptr 1
		.amdhsa_user_sgpr_dispatch_id 0
		.amdhsa_user_sgpr_flat_scratch_init 0
		.amdhsa_user_sgpr_kernarg_preload_length 0
		.amdhsa_user_sgpr_kernarg_preload_offset 0
		.amdhsa_user_sgpr_private_segment_size 0
		.amdhsa_uses_dynamic_stack 0
		.amdhsa_system_sgpr_private_segment_wavefront_offset 0
		.amdhsa_system_sgpr_workgroup_id_x 1
		.amdhsa_system_sgpr_workgroup_id_y 0
		.amdhsa_system_sgpr_workgroup_id_z 0
		.amdhsa_system_sgpr_workgroup_info 0
		.amdhsa_system_vgpr_workitem_id 0
		.amdhsa_next_free_vgpr 15
		.amdhsa_next_free_sgpr 46
		.amdhsa_accum_offset 16
		.amdhsa_reserve_vcc 1
		.amdhsa_reserve_flat_scratch 0
		.amdhsa_float_round_mode_32 0
		.amdhsa_float_round_mode_16_64 0
		.amdhsa_float_denorm_mode_32 3
		.amdhsa_float_denorm_mode_16_64 3
		.amdhsa_dx10_clamp 1
		.amdhsa_ieee_mode 1
		.amdhsa_fp16_overflow 0
		.amdhsa_tg_split 0
		.amdhsa_exception_fp_ieee_invalid_op 0
		.amdhsa_exception_fp_denorm_src 0
		.amdhsa_exception_fp_ieee_div_zero 0
		.amdhsa_exception_fp_ieee_overflow 0
		.amdhsa_exception_fp_ieee_underflow 0
		.amdhsa_exception_fp_ieee_inexact 0
		.amdhsa_exception_int_div_zero 0
	.end_amdhsa_kernel
	.section	.text._ZN9rocsparseL22bsrxmvn_general_kernelILj64ELj8EfllaafEEv20rocsparse_direction_NS_24const_host_device_scalarIT1_EET3_PKS5_PKT2_SA_S7_PKT4_S5_PKT5_S4_PT6_21rocsparse_index_base_b,"axG",@progbits,_ZN9rocsparseL22bsrxmvn_general_kernelILj64ELj8EfllaafEEv20rocsparse_direction_NS_24const_host_device_scalarIT1_EET3_PKS5_PKT2_SA_S7_PKT4_S5_PKT5_S4_PT6_21rocsparse_index_base_b,comdat
.Lfunc_end51:
	.size	_ZN9rocsparseL22bsrxmvn_general_kernelILj64ELj8EfllaafEEv20rocsparse_direction_NS_24const_host_device_scalarIT1_EET3_PKS5_PKT2_SA_S7_PKT4_S5_PKT5_S4_PT6_21rocsparse_index_base_b, .Lfunc_end51-_ZN9rocsparseL22bsrxmvn_general_kernelILj64ELj8EfllaafEEv20rocsparse_direction_NS_24const_host_device_scalarIT1_EET3_PKS5_PKT2_SA_S7_PKT4_S5_PKT5_S4_PT6_21rocsparse_index_base_b
                                        ; -- End function
	.section	.AMDGPU.csdata,"",@progbits
; Kernel info:
; codeLenInByte = 1036
; NumSgprs: 50
; NumVgprs: 15
; NumAgprs: 0
; TotalNumVgprs: 15
; ScratchSize: 0
; MemoryBound: 0
; FloatMode: 240
; IeeeMode: 1
; LDSByteSize: 0 bytes/workgroup (compile time only)
; SGPRBlocks: 6
; VGPRBlocks: 1
; NumSGPRsForWavesPerEU: 50
; NumVGPRsForWavesPerEU: 15
; AccumOffset: 16
; Occupancy: 8
; WaveLimiterHint : 1
; COMPUTE_PGM_RSRC2:SCRATCH_EN: 0
; COMPUTE_PGM_RSRC2:USER_SGPR: 6
; COMPUTE_PGM_RSRC2:TRAP_HANDLER: 0
; COMPUTE_PGM_RSRC2:TGID_X_EN: 1
; COMPUTE_PGM_RSRC2:TGID_Y_EN: 0
; COMPUTE_PGM_RSRC2:TGID_Z_EN: 0
; COMPUTE_PGM_RSRC2:TIDIG_COMP_CNT: 0
; COMPUTE_PGM_RSRC3_GFX90A:ACCUM_OFFSET: 3
; COMPUTE_PGM_RSRC3_GFX90A:TG_SPLIT: 0
	.section	.text._ZN9rocsparseL22bsrxmvn_general_kernelILj256ELj16EfllaafEEv20rocsparse_direction_NS_24const_host_device_scalarIT1_EET3_PKS5_PKT2_SA_S7_PKT4_S5_PKT5_S4_PT6_21rocsparse_index_base_b,"axG",@progbits,_ZN9rocsparseL22bsrxmvn_general_kernelILj256ELj16EfllaafEEv20rocsparse_direction_NS_24const_host_device_scalarIT1_EET3_PKS5_PKT2_SA_S7_PKT4_S5_PKT5_S4_PT6_21rocsparse_index_base_b,comdat
	.globl	_ZN9rocsparseL22bsrxmvn_general_kernelILj256ELj16EfllaafEEv20rocsparse_direction_NS_24const_host_device_scalarIT1_EET3_PKS5_PKT2_SA_S7_PKT4_S5_PKT5_S4_PT6_21rocsparse_index_base_b ; -- Begin function _ZN9rocsparseL22bsrxmvn_general_kernelILj256ELj16EfllaafEEv20rocsparse_direction_NS_24const_host_device_scalarIT1_EET3_PKS5_PKT2_SA_S7_PKT4_S5_PKT5_S4_PT6_21rocsparse_index_base_b
	.p2align	8
	.type	_ZN9rocsparseL22bsrxmvn_general_kernelILj256ELj16EfllaafEEv20rocsparse_direction_NS_24const_host_device_scalarIT1_EET3_PKS5_PKT2_SA_S7_PKT4_S5_PKT5_S4_PT6_21rocsparse_index_base_b,@function
_ZN9rocsparseL22bsrxmvn_general_kernelILj256ELj16EfllaafEEv20rocsparse_direction_NS_24const_host_device_scalarIT1_EET3_PKS5_PKT2_SA_S7_PKT4_S5_PKT5_S4_PT6_21rocsparse_index_base_b: ; @_ZN9rocsparseL22bsrxmvn_general_kernelILj256ELj16EfllaafEEv20rocsparse_direction_NS_24const_host_device_scalarIT1_EET3_PKS5_PKT2_SA_S7_PKT4_S5_PKT5_S4_PT6_21rocsparse_index_base_b
; %bb.0:
	s_load_dwordx2 s[16:17], s[4:5], 0x60
	s_load_dwordx2 s[18:19], s[4:5], 0x8
	;; [unrolled: 1-line block ×3, first 2 shown]
	s_waitcnt lgkmcnt(0)
	s_bitcmp1_b32 s17, 0
	s_cselect_b64 s[2:3], -1, 0
	s_xor_b64 s[0:1], s[2:3], -1
	s_and_b64 vcc, exec, s[2:3]
	s_cbranch_vccnz .LBB52_2
; %bb.1:
	s_load_dword s18, s[18:19], 0x0
.LBB52_2:
	s_andn2_b64 vcc, exec, s[0:1]
	s_cbranch_vccnz .LBB52_4
; %bb.3:
	s_load_dword s20, s[20:21], 0x0
.LBB52_4:
	s_waitcnt lgkmcnt(0)
	v_cmp_neq_f32_e64 s[0:1], s18, 0
	v_cmp_neq_f32_e64 s[2:3], s20, 1.0
	s_or_b64 s[0:1], s[0:1], s[2:3]
	s_andn2_b64 vcc, exec, s[0:1]
	s_mov_b32 s7, 0
	s_cbranch_vccnz .LBB52_26
; %bb.5:
	s_load_dwordx2 s[0:1], s[4:5], 0x18
	s_waitcnt lgkmcnt(0)
	s_cmp_eq_u64 s[0:1], 0
	s_cbranch_scc1 .LBB52_7
; %bb.6:
	s_lshl_b64 s[2:3], s[6:7], 3
	s_add_u32 s0, s0, s2
	s_addc_u32 s1, s1, s3
	s_load_dwordx2 s[0:1], s[0:1], 0x0
	s_waitcnt lgkmcnt(0)
	s_sub_u32 s6, s0, s16
	s_subb_u32 s7, s1, 0
.LBB52_7:
	s_load_dwordx2 s[22:23], s[4:5], 0x40
	v_lshrrev_b32_e32 v2, 4, v0
	v_mov_b32_e32 v3, 0
	s_waitcnt lgkmcnt(0)
	v_cmp_gt_i64_e32 vcc, s[22:23], v[2:3]
	s_and_saveexec_b64 s[0:1], vcc
	s_cbranch_execz .LBB52_26
; %bb.8:
	s_load_dwordx8 s[8:15], s[4:5], 0x20
	s_lshl_b64 s[0:1], s[6:7], 3
	v_and_b32_e32 v0, 15, v0
	v_mov_b32_e32 v1, v3
	s_mov_b64 s[24:25], 0
	s_waitcnt lgkmcnt(0)
	s_add_u32 s2, s8, s0
	s_addc_u32 s3, s9, s1
	s_load_dwordx2 s[34:35], s[2:3], 0x0
	s_load_dwordx2 s[36:37], s[4:5], 0x58
	;; [unrolled: 1-line block ×3, first 2 shown]
	s_mul_i32 s33, s22, s22
	s_waitcnt lgkmcnt(0)
	s_sub_u32 s26, s34, s16
	s_subb_u32 s27, s35, 0
	s_add_u32 s2, s2, 8
	s_addc_u32 s3, s3, 0
	s_add_u32 s0, s10, s0
	s_addc_u32 s1, s11, s1
	s_cmp_eq_u64 s[10:11], 0
	s_cselect_b32 s1, s3, s1
	s_cselect_b32 s0, s2, s0
	s_load_dwordx2 s[30:31], s[0:1], 0x0
	s_load_dword s17, s[4:5], 0x0
	s_mul_i32 s4, s6, s23
	s_mul_hi_u32 s5, s6, s22
	v_mov_b32_e32 v4, s26
	s_waitcnt lgkmcnt(0)
	s_sub_u32 s28, s30, s16
	s_subb_u32 s29, s31, 0
	s_cmp_lg_u32 s17, 0
	v_pk_mov_b32 v[6:7], s[30:31], s[30:31] op_sel:[0,1]
	s_cselect_b64 s[30:31], -1, 0
	s_add_i32 s4, s5, s4
	s_mul_i32 s5, s7, s22
	s_add_i32 s5, s4, s5
	s_mul_i32 s4, s6, s22
	s_lshl_b64 s[4:5], s[4:5], 2
	s_add_u32 s17, s36, s4
	s_addc_u32 s19, s37, s5
	s_mul_i32 s4, s23, s26
	s_mul_i32 s5, s22, s27
	s_add_i32 s6, s5, s4
	v_mad_u64_u32 v[4:5], s[4:5], s22, v4, v[2:3]
	v_add_u32_e32 v5, s6, v5
	v_mul_lo_u32 v8, s22, v5
	v_mul_lo_u32 v9, s23, v4
	v_mad_u64_u32 v[4:5], s[4:5], s22, v4, 0
	s_mul_i32 s4, s22, s23
	s_mul_hi_u32 s5, s22, s22
	v_cmp_lt_i64_e32 vcc, s[34:35], v[6:7]
	s_add_i32 s5, s5, s4
	v_cndmask_b32_e64 v6, 0, 1, vcc
	v_cmp_eq_f32_e64 s[10:11], s20, 0
	v_cmp_gt_u64_e64 s[0:1], s[22:23], v[0:1]
	v_cmp_eq_u32_e64 s[2:3], 15, v0
	v_add3_u32 v5, v5, v8, v9
	s_lshl_b64 s[6:7], s[22:23], 4
	s_add_i32 s21, s5, s4
	v_cmp_ne_u32_e64 s[4:5], 1, v6
	s_branch .LBB52_10
.LBB52_9:                               ;   in Loop: Header=BB52_10 Depth=1
	s_or_b64 exec, exec, s[34:35]
	v_add_co_u32_e32 v2, vcc, 16, v2
	v_addc_co_u32_e32 v3, vcc, 0, v3, vcc
	v_cmp_le_i64_e32 vcc, s[22:23], v[2:3]
	v_mov_b32_e32 v6, s7
	s_or_b64 s[24:25], vcc, s[24:25]
	v_add_co_u32_e32 v4, vcc, s6, v4
	v_addc_co_u32_e32 v5, vcc, v5, v6, vcc
	s_andn2_b64 exec, exec, s[24:25]
	s_cbranch_execz .LBB52_26
.LBB52_10:                              ; =>This Loop Header: Depth=1
                                        ;     Child Loop BB52_14 Depth 2
                                        ;       Child Loop BB52_17 Depth 3
	s_and_b64 vcc, exec, s[4:5]
	v_mov_b32_e32 v12, 0
	s_cbranch_vccnz .LBB52_21
; %bb.11:                               ;   in Loop: Header=BB52_10 Depth=1
	v_mov_b32_e32 v12, 0
	v_pk_mov_b32 v[6:7], v[4:5], v[4:5] op_sel:[0,1]
	s_mov_b64 s[34:35], s[26:27]
	s_branch .LBB52_14
.LBB52_12:                              ;   in Loop: Header=BB52_14 Depth=2
	s_or_b64 exec, exec, s[38:39]
.LBB52_13:                              ;   in Loop: Header=BB52_14 Depth=2
	s_or_b64 exec, exec, s[36:37]
	s_add_u32 s34, s34, 1
	v_mov_b32_e32 v8, s21
	v_add_co_u32_e32 v6, vcc, s33, v6
	s_addc_u32 s35, s35, 0
	v_addc_co_u32_e32 v7, vcc, v7, v8, vcc
	v_pk_mov_b32 v[8:9], s[28:29], s[28:29] op_sel:[0,1]
	v_cmp_ge_i64_e32 vcc, s[34:35], v[8:9]
	s_cbranch_vccnz .LBB52_21
.LBB52_14:                              ;   Parent Loop BB52_10 Depth=1
                                        ; =>  This Loop Header: Depth=2
                                        ;       Child Loop BB52_17 Depth 3
	s_and_saveexec_b64 s[36:37], s[0:1]
	s_cbranch_execz .LBB52_13
; %bb.15:                               ;   in Loop: Header=BB52_14 Depth=2
	s_lshl_b64 s[38:39], s[34:35], 3
	s_add_u32 s38, s12, s38
	s_addc_u32 s39, s13, s39
	s_load_dwordx2 s[38:39], s[38:39], 0x0
	s_mul_i32 s40, s34, s23
	s_mul_hi_u32 s41, s34, s22
	s_mul_i32 s42, s35, s22
	s_mul_i32 s43, s34, s22
	s_waitcnt lgkmcnt(0)
	s_sub_u32 s38, s38, s16
	s_subb_u32 s39, s39, 0
	s_add_i32 s40, s41, s40
	s_add_i32 s42, s40, s42
	s_mul_i32 s40, s38, s23
	s_mul_hi_u32 s41, s38, s22
	s_add_i32 s40, s41, s40
	s_mul_i32 s39, s39, s22
	s_add_i32 s40, s40, s39
	s_mul_i32 s38, s38, s22
	s_add_u32 s44, s8, s38
	s_addc_u32 s45, s9, s40
	s_mov_b64 s[38:39], 0
	v_pk_mov_b32 v[8:9], v[0:1], v[0:1] op_sel:[0,1]
	s_branch .LBB52_17
.LBB52_16:                              ;   in Loop: Header=BB52_17 Depth=3
	v_mov_b32_e32 v13, s15
	v_add_co_u32_e32 v10, vcc, s14, v10
	v_addc_co_u32_e32 v11, vcc, v13, v11, vcc
	global_load_sbyte v13, v[10:11], off
	v_mov_b32_e32 v11, s45
	v_add_co_u32_e32 v10, vcc, s44, v8
	v_addc_co_u32_e32 v11, vcc, v11, v9, vcc
	global_load_sbyte v10, v[10:11], off
	v_add_co_u32_e32 v8, vcc, 16, v8
	v_addc_co_u32_e32 v9, vcc, 0, v9, vcc
	v_cmp_le_i64_e32 vcc, s[22:23], v[8:9]
	s_or_b64 s[38:39], vcc, s[38:39]
	s_waitcnt vmcnt(1)
	v_cvt_f32_i32_e32 v11, v13
	s_waitcnt vmcnt(0)
	v_cvt_f32_i32_e32 v10, v10
	v_fmac_f32_e32 v12, v11, v10
	s_andn2_b64 exec, exec, s[38:39]
	s_cbranch_execz .LBB52_12
.LBB52_17:                              ;   Parent Loop BB52_10 Depth=1
                                        ;     Parent Loop BB52_14 Depth=2
                                        ; =>    This Inner Loop Header: Depth=3
	s_and_b64 vcc, exec, s[30:31]
	s_cbranch_vccz .LBB52_19
; %bb.18:                               ;   in Loop: Header=BB52_17 Depth=3
	v_mov_b32_e32 v10, s42
	v_add_co_u32_e32 v11, vcc, s43, v8
	v_addc_co_u32_e32 v10, vcc, v9, v10, vcc
	v_mul_lo_u32 v13, v11, s23
	v_mul_lo_u32 v14, v10, s22
	v_mad_u64_u32 v[10:11], s[40:41], v11, s22, v[2:3]
	v_add3_u32 v11, v14, v11, v13
	s_cbranch_execnz .LBB52_16
	s_branch .LBB52_20
.LBB52_19:                              ;   in Loop: Header=BB52_17 Depth=3
                                        ; implicit-def: $vgpr10_vgpr11
.LBB52_20:                              ;   in Loop: Header=BB52_17 Depth=3
	v_add_co_u32_e32 v10, vcc, v6, v8
	v_addc_co_u32_e32 v11, vcc, v7, v9, vcc
	s_branch .LBB52_16
.LBB52_21:                              ;   in Loop: Header=BB52_10 Depth=1
	s_nop 0
	v_mov_b32_dpp v6, v12 row_shr:1 row_mask:0xf bank_mask:0xf
	v_add_f32_e32 v6, v12, v6
	s_nop 1
	v_mov_b32_dpp v7, v6 row_shr:2 row_mask:0xf bank_mask:0xf
	v_add_f32_e32 v6, v6, v7
	;; [unrolled: 3-line block ×3, first 2 shown]
	s_nop 1
	v_mov_b32_dpp v7, v6 row_shr:8 row_mask:0xf bank_mask:0xc
	s_and_saveexec_b64 s[34:35], s[2:3]
	s_cbranch_execz .LBB52_9
; %bb.22:                               ;   in Loop: Header=BB52_10 Depth=1
	v_add_f32_e32 v6, v6, v7
	s_and_b64 vcc, exec, s[10:11]
	v_mul_f32_e32 v8, s18, v6
	v_lshlrev_b64 v[6:7], 2, v[2:3]
	s_cbranch_vccz .LBB52_24
; %bb.23:                               ;   in Loop: Header=BB52_10 Depth=1
	v_mov_b32_e32 v9, s19
	v_add_co_u32_e32 v10, vcc, s17, v6
	v_addc_co_u32_e32 v11, vcc, v9, v7, vcc
	global_store_dword v[10:11], v8, off
	s_cbranch_execnz .LBB52_9
	s_branch .LBB52_25
.LBB52_24:                              ;   in Loop: Header=BB52_10 Depth=1
.LBB52_25:                              ;   in Loop: Header=BB52_10 Depth=1
	v_mov_b32_e32 v9, s19
	v_add_co_u32_e32 v6, vcc, s17, v6
	v_addc_co_u32_e32 v7, vcc, v9, v7, vcc
	global_load_dword v9, v[6:7], off
	s_waitcnt vmcnt(0)
	v_fmac_f32_e32 v8, s20, v9
	global_store_dword v[6:7], v8, off
	s_branch .LBB52_9
.LBB52_26:
	s_endpgm
	.section	.rodata,"a",@progbits
	.p2align	6, 0x0
	.amdhsa_kernel _ZN9rocsparseL22bsrxmvn_general_kernelILj256ELj16EfllaafEEv20rocsparse_direction_NS_24const_host_device_scalarIT1_EET3_PKS5_PKT2_SA_S7_PKT4_S5_PKT5_S4_PT6_21rocsparse_index_base_b
		.amdhsa_group_segment_fixed_size 0
		.amdhsa_private_segment_fixed_size 0
		.amdhsa_kernarg_size 104
		.amdhsa_user_sgpr_count 6
		.amdhsa_user_sgpr_private_segment_buffer 1
		.amdhsa_user_sgpr_dispatch_ptr 0
		.amdhsa_user_sgpr_queue_ptr 0
		.amdhsa_user_sgpr_kernarg_segment_ptr 1
		.amdhsa_user_sgpr_dispatch_id 0
		.amdhsa_user_sgpr_flat_scratch_init 0
		.amdhsa_user_sgpr_kernarg_preload_length 0
		.amdhsa_user_sgpr_kernarg_preload_offset 0
		.amdhsa_user_sgpr_private_segment_size 0
		.amdhsa_uses_dynamic_stack 0
		.amdhsa_system_sgpr_private_segment_wavefront_offset 0
		.amdhsa_system_sgpr_workgroup_id_x 1
		.amdhsa_system_sgpr_workgroup_id_y 0
		.amdhsa_system_sgpr_workgroup_id_z 0
		.amdhsa_system_sgpr_workgroup_info 0
		.amdhsa_system_vgpr_workitem_id 0
		.amdhsa_next_free_vgpr 15
		.amdhsa_next_free_sgpr 46
		.amdhsa_accum_offset 16
		.amdhsa_reserve_vcc 1
		.amdhsa_reserve_flat_scratch 0
		.amdhsa_float_round_mode_32 0
		.amdhsa_float_round_mode_16_64 0
		.amdhsa_float_denorm_mode_32 3
		.amdhsa_float_denorm_mode_16_64 3
		.amdhsa_dx10_clamp 1
		.amdhsa_ieee_mode 1
		.amdhsa_fp16_overflow 0
		.amdhsa_tg_split 0
		.amdhsa_exception_fp_ieee_invalid_op 0
		.amdhsa_exception_fp_denorm_src 0
		.amdhsa_exception_fp_ieee_div_zero 0
		.amdhsa_exception_fp_ieee_overflow 0
		.amdhsa_exception_fp_ieee_underflow 0
		.amdhsa_exception_fp_ieee_inexact 0
		.amdhsa_exception_int_div_zero 0
	.end_amdhsa_kernel
	.section	.text._ZN9rocsparseL22bsrxmvn_general_kernelILj256ELj16EfllaafEEv20rocsparse_direction_NS_24const_host_device_scalarIT1_EET3_PKS5_PKT2_SA_S7_PKT4_S5_PKT5_S4_PT6_21rocsparse_index_base_b,"axG",@progbits,_ZN9rocsparseL22bsrxmvn_general_kernelILj256ELj16EfllaafEEv20rocsparse_direction_NS_24const_host_device_scalarIT1_EET3_PKS5_PKT2_SA_S7_PKT4_S5_PKT5_S4_PT6_21rocsparse_index_base_b,comdat
.Lfunc_end52:
	.size	_ZN9rocsparseL22bsrxmvn_general_kernelILj256ELj16EfllaafEEv20rocsparse_direction_NS_24const_host_device_scalarIT1_EET3_PKS5_PKT2_SA_S7_PKT4_S5_PKT5_S4_PT6_21rocsparse_index_base_b, .Lfunc_end52-_ZN9rocsparseL22bsrxmvn_general_kernelILj256ELj16EfllaafEEv20rocsparse_direction_NS_24const_host_device_scalarIT1_EET3_PKS5_PKT2_SA_S7_PKT4_S5_PKT5_S4_PT6_21rocsparse_index_base_b
                                        ; -- End function
	.section	.AMDGPU.csdata,"",@progbits
; Kernel info:
; codeLenInByte = 1052
; NumSgprs: 50
; NumVgprs: 15
; NumAgprs: 0
; TotalNumVgprs: 15
; ScratchSize: 0
; MemoryBound: 0
; FloatMode: 240
; IeeeMode: 1
; LDSByteSize: 0 bytes/workgroup (compile time only)
; SGPRBlocks: 6
; VGPRBlocks: 1
; NumSGPRsForWavesPerEU: 50
; NumVGPRsForWavesPerEU: 15
; AccumOffset: 16
; Occupancy: 8
; WaveLimiterHint : 1
; COMPUTE_PGM_RSRC2:SCRATCH_EN: 0
; COMPUTE_PGM_RSRC2:USER_SGPR: 6
; COMPUTE_PGM_RSRC2:TRAP_HANDLER: 0
; COMPUTE_PGM_RSRC2:TGID_X_EN: 1
; COMPUTE_PGM_RSRC2:TGID_Y_EN: 0
; COMPUTE_PGM_RSRC2:TGID_Z_EN: 0
; COMPUTE_PGM_RSRC2:TIDIG_COMP_CNT: 0
; COMPUTE_PGM_RSRC3_GFX90A:ACCUM_OFFSET: 3
; COMPUTE_PGM_RSRC3_GFX90A:TG_SPLIT: 0
	.section	.text._ZN9rocsparseL22bsrxmvn_general_kernelILj1024ELj32EfllaafEEv20rocsparse_direction_NS_24const_host_device_scalarIT1_EET3_PKS5_PKT2_SA_S7_PKT4_S5_PKT5_S4_PT6_21rocsparse_index_base_b,"axG",@progbits,_ZN9rocsparseL22bsrxmvn_general_kernelILj1024ELj32EfllaafEEv20rocsparse_direction_NS_24const_host_device_scalarIT1_EET3_PKS5_PKT2_SA_S7_PKT4_S5_PKT5_S4_PT6_21rocsparse_index_base_b,comdat
	.globl	_ZN9rocsparseL22bsrxmvn_general_kernelILj1024ELj32EfllaafEEv20rocsparse_direction_NS_24const_host_device_scalarIT1_EET3_PKS5_PKT2_SA_S7_PKT4_S5_PKT5_S4_PT6_21rocsparse_index_base_b ; -- Begin function _ZN9rocsparseL22bsrxmvn_general_kernelILj1024ELj32EfllaafEEv20rocsparse_direction_NS_24const_host_device_scalarIT1_EET3_PKS5_PKT2_SA_S7_PKT4_S5_PKT5_S4_PT6_21rocsparse_index_base_b
	.p2align	8
	.type	_ZN9rocsparseL22bsrxmvn_general_kernelILj1024ELj32EfllaafEEv20rocsparse_direction_NS_24const_host_device_scalarIT1_EET3_PKS5_PKT2_SA_S7_PKT4_S5_PKT5_S4_PT6_21rocsparse_index_base_b,@function
_ZN9rocsparseL22bsrxmvn_general_kernelILj1024ELj32EfllaafEEv20rocsparse_direction_NS_24const_host_device_scalarIT1_EET3_PKS5_PKT2_SA_S7_PKT4_S5_PKT5_S4_PT6_21rocsparse_index_base_b: ; @_ZN9rocsparseL22bsrxmvn_general_kernelILj1024ELj32EfllaafEEv20rocsparse_direction_NS_24const_host_device_scalarIT1_EET3_PKS5_PKT2_SA_S7_PKT4_S5_PKT5_S4_PT6_21rocsparse_index_base_b
; %bb.0:
	s_load_dwordx2 s[16:17], s[4:5], 0x60
	s_load_dwordx2 s[18:19], s[4:5], 0x8
	;; [unrolled: 1-line block ×3, first 2 shown]
	s_waitcnt lgkmcnt(0)
	s_bitcmp1_b32 s17, 0
	s_cselect_b64 s[2:3], -1, 0
	s_xor_b64 s[0:1], s[2:3], -1
	s_and_b64 vcc, exec, s[2:3]
	s_cbranch_vccnz .LBB53_2
; %bb.1:
	s_load_dword s18, s[18:19], 0x0
.LBB53_2:
	s_andn2_b64 vcc, exec, s[0:1]
	s_cbranch_vccnz .LBB53_4
; %bb.3:
	s_load_dword s20, s[20:21], 0x0
.LBB53_4:
	s_waitcnt lgkmcnt(0)
	v_cmp_neq_f32_e64 s[0:1], s18, 0
	v_cmp_neq_f32_e64 s[2:3], s20, 1.0
	s_or_b64 s[0:1], s[0:1], s[2:3]
	s_andn2_b64 vcc, exec, s[0:1]
	s_mov_b32 s7, 0
	s_cbranch_vccnz .LBB53_26
; %bb.5:
	s_load_dwordx2 s[0:1], s[4:5], 0x18
	s_waitcnt lgkmcnt(0)
	s_cmp_eq_u64 s[0:1], 0
	s_cbranch_scc1 .LBB53_7
; %bb.6:
	s_lshl_b64 s[2:3], s[6:7], 3
	s_add_u32 s0, s0, s2
	s_addc_u32 s1, s1, s3
	s_load_dwordx2 s[0:1], s[0:1], 0x0
	s_waitcnt lgkmcnt(0)
	s_sub_u32 s6, s0, s16
	s_subb_u32 s7, s1, 0
.LBB53_7:
	s_load_dwordx2 s[22:23], s[4:5], 0x40
	v_lshrrev_b32_e32 v2, 5, v0
	v_mov_b32_e32 v3, 0
	s_waitcnt lgkmcnt(0)
	v_cmp_gt_i64_e32 vcc, s[22:23], v[2:3]
	s_and_saveexec_b64 s[0:1], vcc
	s_cbranch_execz .LBB53_26
; %bb.8:
	s_load_dwordx8 s[8:15], s[4:5], 0x20
	s_lshl_b64 s[0:1], s[6:7], 3
	v_and_b32_e32 v0, 31, v0
	v_mov_b32_e32 v1, v3
	s_mov_b64 s[24:25], 0
	s_waitcnt lgkmcnt(0)
	s_add_u32 s2, s8, s0
	s_addc_u32 s3, s9, s1
	s_load_dwordx2 s[34:35], s[2:3], 0x0
	s_load_dwordx2 s[36:37], s[4:5], 0x58
	;; [unrolled: 1-line block ×3, first 2 shown]
	s_mul_i32 s33, s22, s22
	s_waitcnt lgkmcnt(0)
	s_sub_u32 s26, s34, s16
	s_subb_u32 s27, s35, 0
	s_add_u32 s2, s2, 8
	s_addc_u32 s3, s3, 0
	s_add_u32 s0, s10, s0
	s_addc_u32 s1, s11, s1
	s_cmp_eq_u64 s[10:11], 0
	s_cselect_b32 s1, s3, s1
	s_cselect_b32 s0, s2, s0
	s_load_dwordx2 s[30:31], s[0:1], 0x0
	s_load_dword s17, s[4:5], 0x0
	s_mul_i32 s4, s6, s23
	s_mul_hi_u32 s5, s6, s22
	v_mov_b32_e32 v4, s26
	s_waitcnt lgkmcnt(0)
	s_sub_u32 s28, s30, s16
	s_subb_u32 s29, s31, 0
	s_cmp_lg_u32 s17, 0
	v_pk_mov_b32 v[6:7], s[30:31], s[30:31] op_sel:[0,1]
	s_cselect_b64 s[30:31], -1, 0
	s_add_i32 s4, s5, s4
	s_mul_i32 s5, s7, s22
	s_add_i32 s5, s4, s5
	s_mul_i32 s4, s6, s22
	s_lshl_b64 s[4:5], s[4:5], 2
	s_add_u32 s17, s36, s4
	s_addc_u32 s19, s37, s5
	s_mul_i32 s4, s23, s26
	s_mul_i32 s5, s22, s27
	s_add_i32 s6, s5, s4
	v_mad_u64_u32 v[4:5], s[4:5], s22, v4, v[2:3]
	v_add_u32_e32 v5, s6, v5
	v_mul_lo_u32 v8, s22, v5
	v_mul_lo_u32 v9, s23, v4
	v_mad_u64_u32 v[4:5], s[4:5], s22, v4, 0
	s_mul_i32 s4, s22, s23
	s_mul_hi_u32 s5, s22, s22
	v_cmp_lt_i64_e32 vcc, s[34:35], v[6:7]
	s_add_i32 s5, s5, s4
	v_cndmask_b32_e64 v6, 0, 1, vcc
	v_cmp_eq_f32_e64 s[10:11], s20, 0
	v_cmp_gt_u64_e64 s[0:1], s[22:23], v[0:1]
	v_cmp_eq_u32_e64 s[2:3], 31, v0
	v_add3_u32 v5, v5, v8, v9
	s_lshl_b64 s[6:7], s[22:23], 5
	s_add_i32 s21, s5, s4
	v_cmp_ne_u32_e64 s[4:5], 1, v6
	s_branch .LBB53_10
.LBB53_9:                               ;   in Loop: Header=BB53_10 Depth=1
	s_or_b64 exec, exec, s[34:35]
	v_add_co_u32_e32 v2, vcc, 32, v2
	v_addc_co_u32_e32 v3, vcc, 0, v3, vcc
	v_cmp_le_i64_e32 vcc, s[22:23], v[2:3]
	v_mov_b32_e32 v6, s7
	s_or_b64 s[24:25], vcc, s[24:25]
	v_add_co_u32_e32 v4, vcc, s6, v4
	v_addc_co_u32_e32 v5, vcc, v5, v6, vcc
	s_andn2_b64 exec, exec, s[24:25]
	s_cbranch_execz .LBB53_26
.LBB53_10:                              ; =>This Loop Header: Depth=1
                                        ;     Child Loop BB53_14 Depth 2
                                        ;       Child Loop BB53_17 Depth 3
	s_and_b64 vcc, exec, s[4:5]
	v_mov_b32_e32 v12, 0
	s_cbranch_vccnz .LBB53_21
; %bb.11:                               ;   in Loop: Header=BB53_10 Depth=1
	v_mov_b32_e32 v12, 0
	v_pk_mov_b32 v[6:7], v[4:5], v[4:5] op_sel:[0,1]
	s_mov_b64 s[34:35], s[26:27]
	s_branch .LBB53_14
.LBB53_12:                              ;   in Loop: Header=BB53_14 Depth=2
	s_or_b64 exec, exec, s[38:39]
.LBB53_13:                              ;   in Loop: Header=BB53_14 Depth=2
	s_or_b64 exec, exec, s[36:37]
	s_add_u32 s34, s34, 1
	v_mov_b32_e32 v8, s21
	v_add_co_u32_e32 v6, vcc, s33, v6
	s_addc_u32 s35, s35, 0
	v_addc_co_u32_e32 v7, vcc, v7, v8, vcc
	v_pk_mov_b32 v[8:9], s[28:29], s[28:29] op_sel:[0,1]
	v_cmp_ge_i64_e32 vcc, s[34:35], v[8:9]
	s_cbranch_vccnz .LBB53_21
.LBB53_14:                              ;   Parent Loop BB53_10 Depth=1
                                        ; =>  This Loop Header: Depth=2
                                        ;       Child Loop BB53_17 Depth 3
	s_and_saveexec_b64 s[36:37], s[0:1]
	s_cbranch_execz .LBB53_13
; %bb.15:                               ;   in Loop: Header=BB53_14 Depth=2
	s_lshl_b64 s[38:39], s[34:35], 3
	s_add_u32 s38, s12, s38
	s_addc_u32 s39, s13, s39
	s_load_dwordx2 s[38:39], s[38:39], 0x0
	s_mul_i32 s40, s34, s23
	s_mul_hi_u32 s41, s34, s22
	s_mul_i32 s42, s35, s22
	s_mul_i32 s43, s34, s22
	s_waitcnt lgkmcnt(0)
	s_sub_u32 s38, s38, s16
	s_subb_u32 s39, s39, 0
	s_add_i32 s40, s41, s40
	s_add_i32 s42, s40, s42
	s_mul_i32 s40, s38, s23
	s_mul_hi_u32 s41, s38, s22
	s_add_i32 s40, s41, s40
	s_mul_i32 s39, s39, s22
	s_add_i32 s40, s40, s39
	s_mul_i32 s38, s38, s22
	s_add_u32 s44, s8, s38
	s_addc_u32 s45, s9, s40
	s_mov_b64 s[38:39], 0
	v_pk_mov_b32 v[8:9], v[0:1], v[0:1] op_sel:[0,1]
	s_branch .LBB53_17
.LBB53_16:                              ;   in Loop: Header=BB53_17 Depth=3
	v_mov_b32_e32 v13, s15
	v_add_co_u32_e32 v10, vcc, s14, v10
	v_addc_co_u32_e32 v11, vcc, v13, v11, vcc
	global_load_sbyte v13, v[10:11], off
	v_mov_b32_e32 v11, s45
	v_add_co_u32_e32 v10, vcc, s44, v8
	v_addc_co_u32_e32 v11, vcc, v11, v9, vcc
	global_load_sbyte v10, v[10:11], off
	v_add_co_u32_e32 v8, vcc, 32, v8
	v_addc_co_u32_e32 v9, vcc, 0, v9, vcc
	v_cmp_le_i64_e32 vcc, s[22:23], v[8:9]
	s_or_b64 s[38:39], vcc, s[38:39]
	s_waitcnt vmcnt(1)
	v_cvt_f32_i32_e32 v11, v13
	s_waitcnt vmcnt(0)
	v_cvt_f32_i32_e32 v10, v10
	v_fmac_f32_e32 v12, v11, v10
	s_andn2_b64 exec, exec, s[38:39]
	s_cbranch_execz .LBB53_12
.LBB53_17:                              ;   Parent Loop BB53_10 Depth=1
                                        ;     Parent Loop BB53_14 Depth=2
                                        ; =>    This Inner Loop Header: Depth=3
	s_and_b64 vcc, exec, s[30:31]
	s_cbranch_vccz .LBB53_19
; %bb.18:                               ;   in Loop: Header=BB53_17 Depth=3
	v_mov_b32_e32 v10, s42
	v_add_co_u32_e32 v11, vcc, s43, v8
	v_addc_co_u32_e32 v10, vcc, v9, v10, vcc
	v_mul_lo_u32 v13, v11, s23
	v_mul_lo_u32 v14, v10, s22
	v_mad_u64_u32 v[10:11], s[40:41], v11, s22, v[2:3]
	v_add3_u32 v11, v14, v11, v13
	s_cbranch_execnz .LBB53_16
	s_branch .LBB53_20
.LBB53_19:                              ;   in Loop: Header=BB53_17 Depth=3
                                        ; implicit-def: $vgpr10_vgpr11
.LBB53_20:                              ;   in Loop: Header=BB53_17 Depth=3
	v_add_co_u32_e32 v10, vcc, v6, v8
	v_addc_co_u32_e32 v11, vcc, v7, v9, vcc
	s_branch .LBB53_16
.LBB53_21:                              ;   in Loop: Header=BB53_10 Depth=1
	s_nop 0
	v_mov_b32_dpp v6, v12 row_shr:1 row_mask:0xf bank_mask:0xf
	v_add_f32_e32 v6, v12, v6
	s_nop 1
	v_mov_b32_dpp v7, v6 row_shr:2 row_mask:0xf bank_mask:0xf
	v_add_f32_e32 v6, v6, v7
	;; [unrolled: 3-line block ×4, first 2 shown]
	s_nop 1
	v_mov_b32_dpp v7, v6 row_bcast:15 row_mask:0xa bank_mask:0xf
	s_and_saveexec_b64 s[34:35], s[2:3]
	s_cbranch_execz .LBB53_9
; %bb.22:                               ;   in Loop: Header=BB53_10 Depth=1
	v_add_f32_e32 v6, v6, v7
	s_and_b64 vcc, exec, s[10:11]
	v_mul_f32_e32 v8, s18, v6
	v_lshlrev_b64 v[6:7], 2, v[2:3]
	s_cbranch_vccz .LBB53_24
; %bb.23:                               ;   in Loop: Header=BB53_10 Depth=1
	v_mov_b32_e32 v9, s19
	v_add_co_u32_e32 v10, vcc, s17, v6
	v_addc_co_u32_e32 v11, vcc, v9, v7, vcc
	global_store_dword v[10:11], v8, off
	s_cbranch_execnz .LBB53_9
	s_branch .LBB53_25
.LBB53_24:                              ;   in Loop: Header=BB53_10 Depth=1
.LBB53_25:                              ;   in Loop: Header=BB53_10 Depth=1
	v_mov_b32_e32 v9, s19
	v_add_co_u32_e32 v6, vcc, s17, v6
	v_addc_co_u32_e32 v7, vcc, v9, v7, vcc
	global_load_dword v9, v[6:7], off
	s_waitcnt vmcnt(0)
	v_fmac_f32_e32 v8, s20, v9
	global_store_dword v[6:7], v8, off
	s_branch .LBB53_9
.LBB53_26:
	s_endpgm
	.section	.rodata,"a",@progbits
	.p2align	6, 0x0
	.amdhsa_kernel _ZN9rocsparseL22bsrxmvn_general_kernelILj1024ELj32EfllaafEEv20rocsparse_direction_NS_24const_host_device_scalarIT1_EET3_PKS5_PKT2_SA_S7_PKT4_S5_PKT5_S4_PT6_21rocsparse_index_base_b
		.amdhsa_group_segment_fixed_size 0
		.amdhsa_private_segment_fixed_size 0
		.amdhsa_kernarg_size 104
		.amdhsa_user_sgpr_count 6
		.amdhsa_user_sgpr_private_segment_buffer 1
		.amdhsa_user_sgpr_dispatch_ptr 0
		.amdhsa_user_sgpr_queue_ptr 0
		.amdhsa_user_sgpr_kernarg_segment_ptr 1
		.amdhsa_user_sgpr_dispatch_id 0
		.amdhsa_user_sgpr_flat_scratch_init 0
		.amdhsa_user_sgpr_kernarg_preload_length 0
		.amdhsa_user_sgpr_kernarg_preload_offset 0
		.amdhsa_user_sgpr_private_segment_size 0
		.amdhsa_uses_dynamic_stack 0
		.amdhsa_system_sgpr_private_segment_wavefront_offset 0
		.amdhsa_system_sgpr_workgroup_id_x 1
		.amdhsa_system_sgpr_workgroup_id_y 0
		.amdhsa_system_sgpr_workgroup_id_z 0
		.amdhsa_system_sgpr_workgroup_info 0
		.amdhsa_system_vgpr_workitem_id 0
		.amdhsa_next_free_vgpr 15
		.amdhsa_next_free_sgpr 46
		.amdhsa_accum_offset 16
		.amdhsa_reserve_vcc 1
		.amdhsa_reserve_flat_scratch 0
		.amdhsa_float_round_mode_32 0
		.amdhsa_float_round_mode_16_64 0
		.amdhsa_float_denorm_mode_32 3
		.amdhsa_float_denorm_mode_16_64 3
		.amdhsa_dx10_clamp 1
		.amdhsa_ieee_mode 1
		.amdhsa_fp16_overflow 0
		.amdhsa_tg_split 0
		.amdhsa_exception_fp_ieee_invalid_op 0
		.amdhsa_exception_fp_denorm_src 0
		.amdhsa_exception_fp_ieee_div_zero 0
		.amdhsa_exception_fp_ieee_overflow 0
		.amdhsa_exception_fp_ieee_underflow 0
		.amdhsa_exception_fp_ieee_inexact 0
		.amdhsa_exception_int_div_zero 0
	.end_amdhsa_kernel
	.section	.text._ZN9rocsparseL22bsrxmvn_general_kernelILj1024ELj32EfllaafEEv20rocsparse_direction_NS_24const_host_device_scalarIT1_EET3_PKS5_PKT2_SA_S7_PKT4_S5_PKT5_S4_PT6_21rocsparse_index_base_b,"axG",@progbits,_ZN9rocsparseL22bsrxmvn_general_kernelILj1024ELj32EfllaafEEv20rocsparse_direction_NS_24const_host_device_scalarIT1_EET3_PKS5_PKT2_SA_S7_PKT4_S5_PKT5_S4_PT6_21rocsparse_index_base_b,comdat
.Lfunc_end53:
	.size	_ZN9rocsparseL22bsrxmvn_general_kernelILj1024ELj32EfllaafEEv20rocsparse_direction_NS_24const_host_device_scalarIT1_EET3_PKS5_PKT2_SA_S7_PKT4_S5_PKT5_S4_PT6_21rocsparse_index_base_b, .Lfunc_end53-_ZN9rocsparseL22bsrxmvn_general_kernelILj1024ELj32EfllaafEEv20rocsparse_direction_NS_24const_host_device_scalarIT1_EET3_PKS5_PKT2_SA_S7_PKT4_S5_PKT5_S4_PT6_21rocsparse_index_base_b
                                        ; -- End function
	.section	.AMDGPU.csdata,"",@progbits
; Kernel info:
; codeLenInByte = 1068
; NumSgprs: 50
; NumVgprs: 15
; NumAgprs: 0
; TotalNumVgprs: 15
; ScratchSize: 0
; MemoryBound: 0
; FloatMode: 240
; IeeeMode: 1
; LDSByteSize: 0 bytes/workgroup (compile time only)
; SGPRBlocks: 6
; VGPRBlocks: 1
; NumSGPRsForWavesPerEU: 50
; NumVGPRsForWavesPerEU: 15
; AccumOffset: 16
; Occupancy: 8
; WaveLimiterHint : 1
; COMPUTE_PGM_RSRC2:SCRATCH_EN: 0
; COMPUTE_PGM_RSRC2:USER_SGPR: 6
; COMPUTE_PGM_RSRC2:TRAP_HANDLER: 0
; COMPUTE_PGM_RSRC2:TGID_X_EN: 1
; COMPUTE_PGM_RSRC2:TGID_Y_EN: 0
; COMPUTE_PGM_RSRC2:TGID_Z_EN: 0
; COMPUTE_PGM_RSRC2:TIDIG_COMP_CNT: 0
; COMPUTE_PGM_RSRC3_GFX90A:ACCUM_OFFSET: 3
; COMPUTE_PGM_RSRC3_GFX90A:TG_SPLIT: 0
	.section	.text._ZN9rocsparseL22bsrxmvn_general_kernelILj64ELj8EfiiDF16_DF16_fEEv20rocsparse_direction_NS_24const_host_device_scalarIT1_EET3_PKS5_PKT2_SA_S7_PKT4_S5_PKT5_S4_PT6_21rocsparse_index_base_b,"axG",@progbits,_ZN9rocsparseL22bsrxmvn_general_kernelILj64ELj8EfiiDF16_DF16_fEEv20rocsparse_direction_NS_24const_host_device_scalarIT1_EET3_PKS5_PKT2_SA_S7_PKT4_S5_PKT5_S4_PT6_21rocsparse_index_base_b,comdat
	.globl	_ZN9rocsparseL22bsrxmvn_general_kernelILj64ELj8EfiiDF16_DF16_fEEv20rocsparse_direction_NS_24const_host_device_scalarIT1_EET3_PKS5_PKT2_SA_S7_PKT4_S5_PKT5_S4_PT6_21rocsparse_index_base_b ; -- Begin function _ZN9rocsparseL22bsrxmvn_general_kernelILj64ELj8EfiiDF16_DF16_fEEv20rocsparse_direction_NS_24const_host_device_scalarIT1_EET3_PKS5_PKT2_SA_S7_PKT4_S5_PKT5_S4_PT6_21rocsparse_index_base_b
	.p2align	8
	.type	_ZN9rocsparseL22bsrxmvn_general_kernelILj64ELj8EfiiDF16_DF16_fEEv20rocsparse_direction_NS_24const_host_device_scalarIT1_EET3_PKS5_PKT2_SA_S7_PKT4_S5_PKT5_S4_PT6_21rocsparse_index_base_b,@function
_ZN9rocsparseL22bsrxmvn_general_kernelILj64ELj8EfiiDF16_DF16_fEEv20rocsparse_direction_NS_24const_host_device_scalarIT1_EET3_PKS5_PKT2_SA_S7_PKT4_S5_PKT5_S4_PT6_21rocsparse_index_base_b: ; @_ZN9rocsparseL22bsrxmvn_general_kernelILj64ELj8EfiiDF16_DF16_fEEv20rocsparse_direction_NS_24const_host_device_scalarIT1_EET3_PKS5_PKT2_SA_S7_PKT4_S5_PKT5_S4_PT6_21rocsparse_index_base_b
; %bb.0:
	s_load_dwordx2 s[16:17], s[4:5], 0x60
	s_load_dwordx2 s[18:19], s[4:5], 0x8
	;; [unrolled: 1-line block ×3, first 2 shown]
	s_waitcnt lgkmcnt(0)
	s_bitcmp1_b32 s17, 0
	s_cselect_b64 s[2:3], -1, 0
	s_xor_b64 s[0:1], s[2:3], -1
	s_and_b64 vcc, exec, s[2:3]
	s_cbranch_vccnz .LBB54_2
; %bb.1:
	s_load_dword s18, s[18:19], 0x0
.LBB54_2:
	s_andn2_b64 vcc, exec, s[0:1]
	s_cbranch_vccnz .LBB54_4
; %bb.3:
	s_load_dword s20, s[20:21], 0x0
.LBB54_4:
	s_waitcnt lgkmcnt(0)
	v_cmp_neq_f32_e64 s[0:1], s18, 0
	v_cmp_neq_f32_e64 s[2:3], s20, 1.0
	s_or_b64 s[0:1], s[0:1], s[2:3]
	s_andn2_b64 vcc, exec, s[0:1]
	s_cbranch_vccnz .LBB54_26
; %bb.5:
	s_load_dwordx2 s[0:1], s[4:5], 0x18
	s_waitcnt lgkmcnt(0)
	s_cmp_eq_u64 s[0:1], 0
	s_cbranch_scc1 .LBB54_7
; %bb.6:
	s_ashr_i32 s7, s6, 31
	s_lshl_b64 s[2:3], s[6:7], 2
	s_add_u32 s0, s0, s2
	s_addc_u32 s1, s1, s3
	s_load_dword s0, s[0:1], 0x0
	s_waitcnt lgkmcnt(0)
	s_sub_i32 s6, s0, s16
.LBB54_7:
	s_load_dword s17, s[4:5], 0x40
	v_lshrrev_b32_e32 v2, 3, v0
	s_waitcnt lgkmcnt(0)
	v_cmp_gt_i32_e32 vcc, s17, v2
	s_and_saveexec_b64 s[0:1], vcc
	s_cbranch_execz .LBB54_26
; %bb.8:
	s_load_dwordx8 s[8:15], s[4:5], 0x20
	s_ashr_i32 s7, s6, 31
	s_lshl_b64 s[0:1], s[6:7], 2
	s_mul_hi_u32 s21, s17, s17
	s_mul_i32 s33, s17, s17
	s_waitcnt lgkmcnt(0)
	s_add_u32 s2, s8, s0
	s_addc_u32 s3, s9, s1
	s_load_dword s7, s[2:3], 0x0
	s_load_dwordx2 s[8:9], s[4:5], 0x58
	s_load_dwordx2 s[22:23], s[4:5], 0x48
	s_mul_i32 s37, s6, s17
	v_and_b32_e32 v0, 7, v0
	s_waitcnt lgkmcnt(0)
	s_sub_i32 s19, s7, s16
	s_add_u32 s2, s2, 4
	s_addc_u32 s3, s3, 0
	s_add_u32 s0, s10, s0
	s_addc_u32 s1, s11, s1
	s_cmp_eq_u64 s[10:11], 0
	s_cselect_b32 s1, s3, s1
	s_cselect_b32 s0, s2, s0
	s_load_dword s2, s[0:1], 0x0
	s_load_dword s3, s[4:5], 0x0
	s_mul_hi_u32 s28, s19, s33
	s_mov_b64 s[24:25], 0
	v_cmp_gt_u32_e64 s[0:1], s17, v0
	s_waitcnt lgkmcnt(0)
	s_sub_i32 s36, s2, s16
	s_cmp_lt_i32 s7, s2
	s_cselect_b64 s[4:5], -1, 0
	s_cmp_lg_u32 s3, 0
	s_cselect_b64 s[10:11], -1, 0
	s_ashr_i32 s6, s19, 31
	s_mul_i32 s7, s19, s21
	s_add_i32 s7, s28, s7
	s_mul_i32 s6, s6, s33
	v_cndmask_b32_e64 v3, 0, 1, s[4:5]
	v_cmp_eq_u32_e64 s[2:3], 7, v0
	v_cmp_eq_f32_e64 s[26:27], s20, 0
	s_add_i32 s38, s7, s6
	s_mul_i32 s39, s19, s33
	v_mul_lo_u32 v12, s17, v2
	s_lshl_b32 s40, s17, 3
	v_mov_b32_e32 v1, 0
	v_mul_lo_u32 v13, s17, v0
	v_cmp_ne_u32_e64 s[4:5], 1, v3
	s_branch .LBB54_10
.LBB54_9:                               ;   in Loop: Header=BB54_10 Depth=1
	s_or_b64 exec, exec, s[6:7]
	v_add_u32_e32 v2, 8, v2
	v_cmp_le_i32_e32 vcc, s17, v2
	s_or_b64 s[24:25], vcc, s[24:25]
	v_add_u32_e32 v12, s40, v12
	s_andn2_b64 exec, exec, s[24:25]
	s_cbranch_execz .LBB54_26
.LBB54_10:                              ; =>This Loop Header: Depth=1
                                        ;     Child Loop BB54_14 Depth 2
                                        ;       Child Loop BB54_17 Depth 3
	s_and_b64 vcc, exec, s[4:5]
	v_mov_b32_e32 v14, 0
	s_cbranch_vccnz .LBB54_21
; %bb.11:                               ;   in Loop: Header=BB54_10 Depth=1
	v_ashrrev_i32_e32 v3, 31, v12
	v_mov_b32_e32 v5, s38
	v_add_co_u32_e32 v4, vcc, s39, v12
	v_addc_co_u32_e32 v5, vcc, v5, v3, vcc
	v_ashrrev_i32_e32 v3, 31, v2
	v_mov_b32_e32 v14, 0
	s_mov_b32 s6, s19
	s_branch .LBB54_14
.LBB54_12:                              ;   in Loop: Header=BB54_14 Depth=2
	s_or_b64 exec, exec, s[30:31]
.LBB54_13:                              ;   in Loop: Header=BB54_14 Depth=2
	s_or_b64 exec, exec, s[28:29]
	s_add_i32 s6, s6, 1
	v_mov_b32_e32 v6, s21
	v_add_co_u32_e32 v4, vcc, s33, v4
	s_cmp_ge_i32 s6, s36
	v_addc_co_u32_e32 v5, vcc, v5, v6, vcc
	s_cbranch_scc1 .LBB54_21
.LBB54_14:                              ;   Parent Loop BB54_10 Depth=1
                                        ; =>  This Loop Header: Depth=2
                                        ;       Child Loop BB54_17 Depth 3
	s_and_saveexec_b64 s[28:29], s[0:1]
	s_cbranch_execz .LBB54_13
; %bb.15:                               ;   in Loop: Header=BB54_14 Depth=2
	s_ashr_i32 s7, s6, 31
	s_lshl_b64 s[30:31], s[6:7], 2
	s_add_u32 s30, s12, s30
	s_addc_u32 s31, s13, s31
	s_load_dword s30, s[30:31], 0x0
	s_mul_i32 s31, s21, s6
	v_mov_b32_e32 v6, s6
	s_mul_i32 s7, s33, s7
	s_add_i32 s7, s7, s31
	s_waitcnt lgkmcnt(0)
	s_sub_i32 s34, s30, s16
	v_mad_u64_u32 v[6:7], s[30:31], s33, v6, v[2:3]
	v_add_u32_e32 v7, s7, v7
	s_mul_i32 s7, s34, s17
	s_mov_b64 s[30:31], 0
	v_mov_b32_e32 v15, v13
	v_pk_mov_b32 v[8:9], v[0:1], v[0:1] op_sel:[0,1]
	s_branch .LBB54_17
.LBB54_16:                              ;   in Loop: Header=BB54_17 Depth=3
	v_lshlrev_b64 v[10:11], 1, v[10:11]
	v_mov_b32_e32 v16, s15
	v_add_co_u32_e32 v10, vcc, s14, v10
	v_addc_co_u32_e32 v11, vcc, v16, v11, vcc
	global_load_ushort v16, v[10:11], off
	v_add_u32_e32 v10, s7, v8
	v_ashrrev_i32_e32 v11, 31, v10
	v_lshlrev_b64 v[10:11], 1, v[10:11]
	v_mov_b32_e32 v17, s23
	v_add_co_u32_e32 v10, vcc, s22, v10
	v_addc_co_u32_e32 v11, vcc, v17, v11, vcc
	global_load_ushort v10, v[10:11], off
	v_add_co_u32_e32 v8, vcc, 8, v8
	v_addc_co_u32_e32 v9, vcc, 0, v9, vcc
	v_cmp_le_i32_e32 vcc, s17, v8
	s_or_b64 s[30:31], vcc, s[30:31]
	v_add_u32_e32 v15, s40, v15
	s_waitcnt vmcnt(0)
	v_fma_mix_f32 v14, v16, v10, v14 op_sel_hi:[1,1,0]
	s_andn2_b64 exec, exec, s[30:31]
	s_cbranch_execz .LBB54_12
.LBB54_17:                              ;   Parent Loop BB54_10 Depth=1
                                        ;     Parent Loop BB54_14 Depth=2
                                        ; =>    This Inner Loop Header: Depth=3
	s_and_b64 vcc, exec, s[10:11]
	s_cbranch_vccz .LBB54_19
; %bb.18:                               ;   in Loop: Header=BB54_17 Depth=3
	v_ashrrev_i32_e32 v11, 31, v15
	v_add_co_u32_e32 v10, vcc, v6, v15
	v_addc_co_u32_e32 v11, vcc, v7, v11, vcc
	s_cbranch_execnz .LBB54_16
	s_branch .LBB54_20
.LBB54_19:                              ;   in Loop: Header=BB54_17 Depth=3
                                        ; implicit-def: $vgpr10_vgpr11
.LBB54_20:                              ;   in Loop: Header=BB54_17 Depth=3
	v_add_co_u32_e32 v10, vcc, v4, v8
	v_addc_co_u32_e32 v11, vcc, v5, v9, vcc
	s_branch .LBB54_16
.LBB54_21:                              ;   in Loop: Header=BB54_10 Depth=1
	s_nop 0
	v_mov_b32_dpp v3, v14 row_shr:1 row_mask:0xf bank_mask:0xf
	v_add_f32_e32 v3, v14, v3
	s_nop 1
	v_mov_b32_dpp v4, v3 row_shr:2 row_mask:0xf bank_mask:0xf
	v_add_f32_e32 v3, v3, v4
	s_nop 1
	v_mov_b32_dpp v4, v3 row_shr:4 row_mask:0xf bank_mask:0xe
	s_and_saveexec_b64 s[6:7], s[2:3]
	s_cbranch_execz .LBB54_9
; %bb.22:                               ;   in Loop: Header=BB54_10 Depth=1
	v_add_f32_e32 v3, v3, v4
	v_add_u32_e32 v4, s37, v2
	s_and_b64 vcc, exec, s[26:27]
	v_mul_f32_e32 v3, s18, v3
	v_ashrrev_i32_e32 v5, 31, v4
	s_cbranch_vccz .LBB54_24
; %bb.23:                               ;   in Loop: Header=BB54_10 Depth=1
	v_lshlrev_b64 v[6:7], 2, v[4:5]
	v_mov_b32_e32 v8, s9
	v_add_co_u32_e32 v6, vcc, s8, v6
	v_addc_co_u32_e32 v7, vcc, v8, v7, vcc
	global_store_dword v[6:7], v3, off
	s_cbranch_execnz .LBB54_9
	s_branch .LBB54_25
.LBB54_24:                              ;   in Loop: Header=BB54_10 Depth=1
.LBB54_25:                              ;   in Loop: Header=BB54_10 Depth=1
	v_lshlrev_b64 v[4:5], 2, v[4:5]
	v_mov_b32_e32 v6, s9
	v_add_co_u32_e32 v4, vcc, s8, v4
	v_addc_co_u32_e32 v5, vcc, v6, v5, vcc
	global_load_dword v6, v[4:5], off
	s_waitcnt vmcnt(0)
	v_fmac_f32_e32 v3, s20, v6
	global_store_dword v[4:5], v3, off
	s_branch .LBB54_9
.LBB54_26:
	s_endpgm
	.section	.rodata,"a",@progbits
	.p2align	6, 0x0
	.amdhsa_kernel _ZN9rocsparseL22bsrxmvn_general_kernelILj64ELj8EfiiDF16_DF16_fEEv20rocsparse_direction_NS_24const_host_device_scalarIT1_EET3_PKS5_PKT2_SA_S7_PKT4_S5_PKT5_S4_PT6_21rocsparse_index_base_b
		.amdhsa_group_segment_fixed_size 0
		.amdhsa_private_segment_fixed_size 0
		.amdhsa_kernarg_size 104
		.amdhsa_user_sgpr_count 6
		.amdhsa_user_sgpr_private_segment_buffer 1
		.amdhsa_user_sgpr_dispatch_ptr 0
		.amdhsa_user_sgpr_queue_ptr 0
		.amdhsa_user_sgpr_kernarg_segment_ptr 1
		.amdhsa_user_sgpr_dispatch_id 0
		.amdhsa_user_sgpr_flat_scratch_init 0
		.amdhsa_user_sgpr_kernarg_preload_length 0
		.amdhsa_user_sgpr_kernarg_preload_offset 0
		.amdhsa_user_sgpr_private_segment_size 0
		.amdhsa_uses_dynamic_stack 0
		.amdhsa_system_sgpr_private_segment_wavefront_offset 0
		.amdhsa_system_sgpr_workgroup_id_x 1
		.amdhsa_system_sgpr_workgroup_id_y 0
		.amdhsa_system_sgpr_workgroup_id_z 0
		.amdhsa_system_sgpr_workgroup_info 0
		.amdhsa_system_vgpr_workitem_id 0
		.amdhsa_next_free_vgpr 18
		.amdhsa_next_free_sgpr 41
		.amdhsa_accum_offset 20
		.amdhsa_reserve_vcc 1
		.amdhsa_reserve_flat_scratch 0
		.amdhsa_float_round_mode_32 0
		.amdhsa_float_round_mode_16_64 0
		.amdhsa_float_denorm_mode_32 3
		.amdhsa_float_denorm_mode_16_64 3
		.amdhsa_dx10_clamp 1
		.amdhsa_ieee_mode 1
		.amdhsa_fp16_overflow 0
		.amdhsa_tg_split 0
		.amdhsa_exception_fp_ieee_invalid_op 0
		.amdhsa_exception_fp_denorm_src 0
		.amdhsa_exception_fp_ieee_div_zero 0
		.amdhsa_exception_fp_ieee_overflow 0
		.amdhsa_exception_fp_ieee_underflow 0
		.amdhsa_exception_fp_ieee_inexact 0
		.amdhsa_exception_int_div_zero 0
	.end_amdhsa_kernel
	.section	.text._ZN9rocsparseL22bsrxmvn_general_kernelILj64ELj8EfiiDF16_DF16_fEEv20rocsparse_direction_NS_24const_host_device_scalarIT1_EET3_PKS5_PKT2_SA_S7_PKT4_S5_PKT5_S4_PT6_21rocsparse_index_base_b,"axG",@progbits,_ZN9rocsparseL22bsrxmvn_general_kernelILj64ELj8EfiiDF16_DF16_fEEv20rocsparse_direction_NS_24const_host_device_scalarIT1_EET3_PKS5_PKT2_SA_S7_PKT4_S5_PKT5_S4_PT6_21rocsparse_index_base_b,comdat
.Lfunc_end54:
	.size	_ZN9rocsparseL22bsrxmvn_general_kernelILj64ELj8EfiiDF16_DF16_fEEv20rocsparse_direction_NS_24const_host_device_scalarIT1_EET3_PKS5_PKT2_SA_S7_PKT4_S5_PKT5_S4_PT6_21rocsparse_index_base_b, .Lfunc_end54-_ZN9rocsparseL22bsrxmvn_general_kernelILj64ELj8EfiiDF16_DF16_fEEv20rocsparse_direction_NS_24const_host_device_scalarIT1_EET3_PKS5_PKT2_SA_S7_PKT4_S5_PKT5_S4_PT6_21rocsparse_index_base_b
                                        ; -- End function
	.section	.AMDGPU.csdata,"",@progbits
; Kernel info:
; codeLenInByte = 932
; NumSgprs: 45
; NumVgprs: 18
; NumAgprs: 0
; TotalNumVgprs: 18
; ScratchSize: 0
; MemoryBound: 0
; FloatMode: 240
; IeeeMode: 1
; LDSByteSize: 0 bytes/workgroup (compile time only)
; SGPRBlocks: 5
; VGPRBlocks: 2
; NumSGPRsForWavesPerEU: 45
; NumVGPRsForWavesPerEU: 18
; AccumOffset: 20
; Occupancy: 8
; WaveLimiterHint : 1
; COMPUTE_PGM_RSRC2:SCRATCH_EN: 0
; COMPUTE_PGM_RSRC2:USER_SGPR: 6
; COMPUTE_PGM_RSRC2:TRAP_HANDLER: 0
; COMPUTE_PGM_RSRC2:TGID_X_EN: 1
; COMPUTE_PGM_RSRC2:TGID_Y_EN: 0
; COMPUTE_PGM_RSRC2:TGID_Z_EN: 0
; COMPUTE_PGM_RSRC2:TIDIG_COMP_CNT: 0
; COMPUTE_PGM_RSRC3_GFX90A:ACCUM_OFFSET: 4
; COMPUTE_PGM_RSRC3_GFX90A:TG_SPLIT: 0
	.section	.text._ZN9rocsparseL22bsrxmvn_general_kernelILj256ELj16EfiiDF16_DF16_fEEv20rocsparse_direction_NS_24const_host_device_scalarIT1_EET3_PKS5_PKT2_SA_S7_PKT4_S5_PKT5_S4_PT6_21rocsparse_index_base_b,"axG",@progbits,_ZN9rocsparseL22bsrxmvn_general_kernelILj256ELj16EfiiDF16_DF16_fEEv20rocsparse_direction_NS_24const_host_device_scalarIT1_EET3_PKS5_PKT2_SA_S7_PKT4_S5_PKT5_S4_PT6_21rocsparse_index_base_b,comdat
	.globl	_ZN9rocsparseL22bsrxmvn_general_kernelILj256ELj16EfiiDF16_DF16_fEEv20rocsparse_direction_NS_24const_host_device_scalarIT1_EET3_PKS5_PKT2_SA_S7_PKT4_S5_PKT5_S4_PT6_21rocsparse_index_base_b ; -- Begin function _ZN9rocsparseL22bsrxmvn_general_kernelILj256ELj16EfiiDF16_DF16_fEEv20rocsparse_direction_NS_24const_host_device_scalarIT1_EET3_PKS5_PKT2_SA_S7_PKT4_S5_PKT5_S4_PT6_21rocsparse_index_base_b
	.p2align	8
	.type	_ZN9rocsparseL22bsrxmvn_general_kernelILj256ELj16EfiiDF16_DF16_fEEv20rocsparse_direction_NS_24const_host_device_scalarIT1_EET3_PKS5_PKT2_SA_S7_PKT4_S5_PKT5_S4_PT6_21rocsparse_index_base_b,@function
_ZN9rocsparseL22bsrxmvn_general_kernelILj256ELj16EfiiDF16_DF16_fEEv20rocsparse_direction_NS_24const_host_device_scalarIT1_EET3_PKS5_PKT2_SA_S7_PKT4_S5_PKT5_S4_PT6_21rocsparse_index_base_b: ; @_ZN9rocsparseL22bsrxmvn_general_kernelILj256ELj16EfiiDF16_DF16_fEEv20rocsparse_direction_NS_24const_host_device_scalarIT1_EET3_PKS5_PKT2_SA_S7_PKT4_S5_PKT5_S4_PT6_21rocsparse_index_base_b
; %bb.0:
	s_load_dwordx2 s[16:17], s[4:5], 0x60
	s_load_dwordx2 s[18:19], s[4:5], 0x8
	;; [unrolled: 1-line block ×3, first 2 shown]
	s_waitcnt lgkmcnt(0)
	s_bitcmp1_b32 s17, 0
	s_cselect_b64 s[2:3], -1, 0
	s_xor_b64 s[0:1], s[2:3], -1
	s_and_b64 vcc, exec, s[2:3]
	s_cbranch_vccnz .LBB55_2
; %bb.1:
	s_load_dword s18, s[18:19], 0x0
.LBB55_2:
	s_andn2_b64 vcc, exec, s[0:1]
	s_cbranch_vccnz .LBB55_4
; %bb.3:
	s_load_dword s20, s[20:21], 0x0
.LBB55_4:
	s_waitcnt lgkmcnt(0)
	v_cmp_neq_f32_e64 s[0:1], s18, 0
	v_cmp_neq_f32_e64 s[2:3], s20, 1.0
	s_or_b64 s[0:1], s[0:1], s[2:3]
	s_andn2_b64 vcc, exec, s[0:1]
	s_cbranch_vccnz .LBB55_26
; %bb.5:
	s_load_dwordx2 s[0:1], s[4:5], 0x18
	s_waitcnt lgkmcnt(0)
	s_cmp_eq_u64 s[0:1], 0
	s_cbranch_scc1 .LBB55_7
; %bb.6:
	s_ashr_i32 s7, s6, 31
	s_lshl_b64 s[2:3], s[6:7], 2
	s_add_u32 s0, s0, s2
	s_addc_u32 s1, s1, s3
	s_load_dword s0, s[0:1], 0x0
	s_waitcnt lgkmcnt(0)
	s_sub_i32 s6, s0, s16
.LBB55_7:
	s_load_dword s17, s[4:5], 0x40
	v_lshrrev_b32_e32 v2, 4, v0
	s_waitcnt lgkmcnt(0)
	v_cmp_gt_i32_e32 vcc, s17, v2
	s_and_saveexec_b64 s[0:1], vcc
	s_cbranch_execz .LBB55_26
; %bb.8:
	s_load_dwordx8 s[8:15], s[4:5], 0x20
	s_ashr_i32 s7, s6, 31
	s_lshl_b64 s[0:1], s[6:7], 2
	s_mul_hi_u32 s21, s17, s17
	s_mul_i32 s33, s17, s17
	s_waitcnt lgkmcnt(0)
	s_add_u32 s2, s8, s0
	s_addc_u32 s3, s9, s1
	s_load_dword s7, s[2:3], 0x0
	s_load_dwordx2 s[8:9], s[4:5], 0x58
	s_load_dwordx2 s[22:23], s[4:5], 0x48
	s_mul_i32 s37, s6, s17
	v_and_b32_e32 v0, 15, v0
	s_waitcnt lgkmcnt(0)
	s_sub_i32 s19, s7, s16
	s_add_u32 s2, s2, 4
	s_addc_u32 s3, s3, 0
	s_add_u32 s0, s10, s0
	s_addc_u32 s1, s11, s1
	s_cmp_eq_u64 s[10:11], 0
	s_cselect_b32 s1, s3, s1
	s_cselect_b32 s0, s2, s0
	s_load_dword s2, s[0:1], 0x0
	s_load_dword s3, s[4:5], 0x0
	s_mul_hi_u32 s28, s19, s33
	s_mov_b64 s[24:25], 0
	v_cmp_gt_u32_e64 s[0:1], s17, v0
	s_waitcnt lgkmcnt(0)
	s_sub_i32 s36, s2, s16
	s_cmp_lt_i32 s7, s2
	s_cselect_b64 s[4:5], -1, 0
	s_cmp_lg_u32 s3, 0
	s_cselect_b64 s[10:11], -1, 0
	s_ashr_i32 s6, s19, 31
	s_mul_i32 s7, s19, s21
	s_add_i32 s7, s28, s7
	s_mul_i32 s6, s6, s33
	v_cndmask_b32_e64 v3, 0, 1, s[4:5]
	v_cmp_eq_u32_e64 s[2:3], 15, v0
	v_cmp_eq_f32_e64 s[26:27], s20, 0
	s_add_i32 s38, s7, s6
	s_mul_i32 s39, s19, s33
	v_mul_lo_u32 v12, s17, v2
	s_lshl_b32 s40, s17, 4
	v_mov_b32_e32 v1, 0
	v_mul_lo_u32 v13, s17, v0
	v_cmp_ne_u32_e64 s[4:5], 1, v3
	s_branch .LBB55_10
.LBB55_9:                               ;   in Loop: Header=BB55_10 Depth=1
	s_or_b64 exec, exec, s[6:7]
	v_add_u32_e32 v2, 16, v2
	v_cmp_le_i32_e32 vcc, s17, v2
	s_or_b64 s[24:25], vcc, s[24:25]
	v_add_u32_e32 v12, s40, v12
	s_andn2_b64 exec, exec, s[24:25]
	s_cbranch_execz .LBB55_26
.LBB55_10:                              ; =>This Loop Header: Depth=1
                                        ;     Child Loop BB55_14 Depth 2
                                        ;       Child Loop BB55_17 Depth 3
	s_and_b64 vcc, exec, s[4:5]
	v_mov_b32_e32 v14, 0
	s_cbranch_vccnz .LBB55_21
; %bb.11:                               ;   in Loop: Header=BB55_10 Depth=1
	v_ashrrev_i32_e32 v3, 31, v12
	v_mov_b32_e32 v5, s38
	v_add_co_u32_e32 v4, vcc, s39, v12
	v_addc_co_u32_e32 v5, vcc, v5, v3, vcc
	v_ashrrev_i32_e32 v3, 31, v2
	v_mov_b32_e32 v14, 0
	s_mov_b32 s6, s19
	s_branch .LBB55_14
.LBB55_12:                              ;   in Loop: Header=BB55_14 Depth=2
	s_or_b64 exec, exec, s[30:31]
.LBB55_13:                              ;   in Loop: Header=BB55_14 Depth=2
	s_or_b64 exec, exec, s[28:29]
	s_add_i32 s6, s6, 1
	v_mov_b32_e32 v6, s21
	v_add_co_u32_e32 v4, vcc, s33, v4
	s_cmp_ge_i32 s6, s36
	v_addc_co_u32_e32 v5, vcc, v5, v6, vcc
	s_cbranch_scc1 .LBB55_21
.LBB55_14:                              ;   Parent Loop BB55_10 Depth=1
                                        ; =>  This Loop Header: Depth=2
                                        ;       Child Loop BB55_17 Depth 3
	s_and_saveexec_b64 s[28:29], s[0:1]
	s_cbranch_execz .LBB55_13
; %bb.15:                               ;   in Loop: Header=BB55_14 Depth=2
	s_ashr_i32 s7, s6, 31
	s_lshl_b64 s[30:31], s[6:7], 2
	s_add_u32 s30, s12, s30
	s_addc_u32 s31, s13, s31
	s_load_dword s30, s[30:31], 0x0
	s_mul_i32 s31, s21, s6
	v_mov_b32_e32 v6, s6
	s_mul_i32 s7, s33, s7
	s_add_i32 s7, s7, s31
	s_waitcnt lgkmcnt(0)
	s_sub_i32 s34, s30, s16
	v_mad_u64_u32 v[6:7], s[30:31], s33, v6, v[2:3]
	v_add_u32_e32 v7, s7, v7
	s_mul_i32 s7, s34, s17
	s_mov_b64 s[30:31], 0
	v_mov_b32_e32 v15, v13
	v_pk_mov_b32 v[8:9], v[0:1], v[0:1] op_sel:[0,1]
	s_branch .LBB55_17
.LBB55_16:                              ;   in Loop: Header=BB55_17 Depth=3
	v_lshlrev_b64 v[10:11], 1, v[10:11]
	v_mov_b32_e32 v16, s15
	v_add_co_u32_e32 v10, vcc, s14, v10
	v_addc_co_u32_e32 v11, vcc, v16, v11, vcc
	global_load_ushort v16, v[10:11], off
	v_add_u32_e32 v10, s7, v8
	v_ashrrev_i32_e32 v11, 31, v10
	v_lshlrev_b64 v[10:11], 1, v[10:11]
	v_mov_b32_e32 v17, s23
	v_add_co_u32_e32 v10, vcc, s22, v10
	v_addc_co_u32_e32 v11, vcc, v17, v11, vcc
	global_load_ushort v10, v[10:11], off
	v_add_co_u32_e32 v8, vcc, 16, v8
	v_addc_co_u32_e32 v9, vcc, 0, v9, vcc
	v_cmp_le_i32_e32 vcc, s17, v8
	s_or_b64 s[30:31], vcc, s[30:31]
	v_add_u32_e32 v15, s40, v15
	s_waitcnt vmcnt(0)
	v_fma_mix_f32 v14, v16, v10, v14 op_sel_hi:[1,1,0]
	s_andn2_b64 exec, exec, s[30:31]
	s_cbranch_execz .LBB55_12
.LBB55_17:                              ;   Parent Loop BB55_10 Depth=1
                                        ;     Parent Loop BB55_14 Depth=2
                                        ; =>    This Inner Loop Header: Depth=3
	s_and_b64 vcc, exec, s[10:11]
	s_cbranch_vccz .LBB55_19
; %bb.18:                               ;   in Loop: Header=BB55_17 Depth=3
	v_ashrrev_i32_e32 v11, 31, v15
	v_add_co_u32_e32 v10, vcc, v6, v15
	v_addc_co_u32_e32 v11, vcc, v7, v11, vcc
	s_cbranch_execnz .LBB55_16
	s_branch .LBB55_20
.LBB55_19:                              ;   in Loop: Header=BB55_17 Depth=3
                                        ; implicit-def: $vgpr10_vgpr11
.LBB55_20:                              ;   in Loop: Header=BB55_17 Depth=3
	v_add_co_u32_e32 v10, vcc, v4, v8
	v_addc_co_u32_e32 v11, vcc, v5, v9, vcc
	s_branch .LBB55_16
.LBB55_21:                              ;   in Loop: Header=BB55_10 Depth=1
	s_nop 0
	v_mov_b32_dpp v3, v14 row_shr:1 row_mask:0xf bank_mask:0xf
	v_add_f32_e32 v3, v14, v3
	s_nop 1
	v_mov_b32_dpp v4, v3 row_shr:2 row_mask:0xf bank_mask:0xf
	v_add_f32_e32 v3, v3, v4
	;; [unrolled: 3-line block ×3, first 2 shown]
	s_nop 1
	v_mov_b32_dpp v4, v3 row_shr:8 row_mask:0xf bank_mask:0xc
	s_and_saveexec_b64 s[6:7], s[2:3]
	s_cbranch_execz .LBB55_9
; %bb.22:                               ;   in Loop: Header=BB55_10 Depth=1
	v_add_f32_e32 v3, v3, v4
	v_add_u32_e32 v4, s37, v2
	s_and_b64 vcc, exec, s[26:27]
	v_mul_f32_e32 v3, s18, v3
	v_ashrrev_i32_e32 v5, 31, v4
	s_cbranch_vccz .LBB55_24
; %bb.23:                               ;   in Loop: Header=BB55_10 Depth=1
	v_lshlrev_b64 v[6:7], 2, v[4:5]
	v_mov_b32_e32 v8, s9
	v_add_co_u32_e32 v6, vcc, s8, v6
	v_addc_co_u32_e32 v7, vcc, v8, v7, vcc
	global_store_dword v[6:7], v3, off
	s_cbranch_execnz .LBB55_9
	s_branch .LBB55_25
.LBB55_24:                              ;   in Loop: Header=BB55_10 Depth=1
.LBB55_25:                              ;   in Loop: Header=BB55_10 Depth=1
	v_lshlrev_b64 v[4:5], 2, v[4:5]
	v_mov_b32_e32 v6, s9
	v_add_co_u32_e32 v4, vcc, s8, v4
	v_addc_co_u32_e32 v5, vcc, v6, v5, vcc
	global_load_dword v6, v[4:5], off
	s_waitcnt vmcnt(0)
	v_fmac_f32_e32 v3, s20, v6
	global_store_dword v[4:5], v3, off
	s_branch .LBB55_9
.LBB55_26:
	s_endpgm
	.section	.rodata,"a",@progbits
	.p2align	6, 0x0
	.amdhsa_kernel _ZN9rocsparseL22bsrxmvn_general_kernelILj256ELj16EfiiDF16_DF16_fEEv20rocsparse_direction_NS_24const_host_device_scalarIT1_EET3_PKS5_PKT2_SA_S7_PKT4_S5_PKT5_S4_PT6_21rocsparse_index_base_b
		.amdhsa_group_segment_fixed_size 0
		.amdhsa_private_segment_fixed_size 0
		.amdhsa_kernarg_size 104
		.amdhsa_user_sgpr_count 6
		.amdhsa_user_sgpr_private_segment_buffer 1
		.amdhsa_user_sgpr_dispatch_ptr 0
		.amdhsa_user_sgpr_queue_ptr 0
		.amdhsa_user_sgpr_kernarg_segment_ptr 1
		.amdhsa_user_sgpr_dispatch_id 0
		.amdhsa_user_sgpr_flat_scratch_init 0
		.amdhsa_user_sgpr_kernarg_preload_length 0
		.amdhsa_user_sgpr_kernarg_preload_offset 0
		.amdhsa_user_sgpr_private_segment_size 0
		.amdhsa_uses_dynamic_stack 0
		.amdhsa_system_sgpr_private_segment_wavefront_offset 0
		.amdhsa_system_sgpr_workgroup_id_x 1
		.amdhsa_system_sgpr_workgroup_id_y 0
		.amdhsa_system_sgpr_workgroup_id_z 0
		.amdhsa_system_sgpr_workgroup_info 0
		.amdhsa_system_vgpr_workitem_id 0
		.amdhsa_next_free_vgpr 18
		.amdhsa_next_free_sgpr 41
		.amdhsa_accum_offset 20
		.amdhsa_reserve_vcc 1
		.amdhsa_reserve_flat_scratch 0
		.amdhsa_float_round_mode_32 0
		.amdhsa_float_round_mode_16_64 0
		.amdhsa_float_denorm_mode_32 3
		.amdhsa_float_denorm_mode_16_64 3
		.amdhsa_dx10_clamp 1
		.amdhsa_ieee_mode 1
		.amdhsa_fp16_overflow 0
		.amdhsa_tg_split 0
		.amdhsa_exception_fp_ieee_invalid_op 0
		.amdhsa_exception_fp_denorm_src 0
		.amdhsa_exception_fp_ieee_div_zero 0
		.amdhsa_exception_fp_ieee_overflow 0
		.amdhsa_exception_fp_ieee_underflow 0
		.amdhsa_exception_fp_ieee_inexact 0
		.amdhsa_exception_int_div_zero 0
	.end_amdhsa_kernel
	.section	.text._ZN9rocsparseL22bsrxmvn_general_kernelILj256ELj16EfiiDF16_DF16_fEEv20rocsparse_direction_NS_24const_host_device_scalarIT1_EET3_PKS5_PKT2_SA_S7_PKT4_S5_PKT5_S4_PT6_21rocsparse_index_base_b,"axG",@progbits,_ZN9rocsparseL22bsrxmvn_general_kernelILj256ELj16EfiiDF16_DF16_fEEv20rocsparse_direction_NS_24const_host_device_scalarIT1_EET3_PKS5_PKT2_SA_S7_PKT4_S5_PKT5_S4_PT6_21rocsparse_index_base_b,comdat
.Lfunc_end55:
	.size	_ZN9rocsparseL22bsrxmvn_general_kernelILj256ELj16EfiiDF16_DF16_fEEv20rocsparse_direction_NS_24const_host_device_scalarIT1_EET3_PKS5_PKT2_SA_S7_PKT4_S5_PKT5_S4_PT6_21rocsparse_index_base_b, .Lfunc_end55-_ZN9rocsparseL22bsrxmvn_general_kernelILj256ELj16EfiiDF16_DF16_fEEv20rocsparse_direction_NS_24const_host_device_scalarIT1_EET3_PKS5_PKT2_SA_S7_PKT4_S5_PKT5_S4_PT6_21rocsparse_index_base_b
                                        ; -- End function
	.section	.AMDGPU.csdata,"",@progbits
; Kernel info:
; codeLenInByte = 948
; NumSgprs: 45
; NumVgprs: 18
; NumAgprs: 0
; TotalNumVgprs: 18
; ScratchSize: 0
; MemoryBound: 0
; FloatMode: 240
; IeeeMode: 1
; LDSByteSize: 0 bytes/workgroup (compile time only)
; SGPRBlocks: 5
; VGPRBlocks: 2
; NumSGPRsForWavesPerEU: 45
; NumVGPRsForWavesPerEU: 18
; AccumOffset: 20
; Occupancy: 8
; WaveLimiterHint : 1
; COMPUTE_PGM_RSRC2:SCRATCH_EN: 0
; COMPUTE_PGM_RSRC2:USER_SGPR: 6
; COMPUTE_PGM_RSRC2:TRAP_HANDLER: 0
; COMPUTE_PGM_RSRC2:TGID_X_EN: 1
; COMPUTE_PGM_RSRC2:TGID_Y_EN: 0
; COMPUTE_PGM_RSRC2:TGID_Z_EN: 0
; COMPUTE_PGM_RSRC2:TIDIG_COMP_CNT: 0
; COMPUTE_PGM_RSRC3_GFX90A:ACCUM_OFFSET: 4
; COMPUTE_PGM_RSRC3_GFX90A:TG_SPLIT: 0
	.section	.text._ZN9rocsparseL22bsrxmvn_general_kernelILj1024ELj32EfiiDF16_DF16_fEEv20rocsparse_direction_NS_24const_host_device_scalarIT1_EET3_PKS5_PKT2_SA_S7_PKT4_S5_PKT5_S4_PT6_21rocsparse_index_base_b,"axG",@progbits,_ZN9rocsparseL22bsrxmvn_general_kernelILj1024ELj32EfiiDF16_DF16_fEEv20rocsparse_direction_NS_24const_host_device_scalarIT1_EET3_PKS5_PKT2_SA_S7_PKT4_S5_PKT5_S4_PT6_21rocsparse_index_base_b,comdat
	.globl	_ZN9rocsparseL22bsrxmvn_general_kernelILj1024ELj32EfiiDF16_DF16_fEEv20rocsparse_direction_NS_24const_host_device_scalarIT1_EET3_PKS5_PKT2_SA_S7_PKT4_S5_PKT5_S4_PT6_21rocsparse_index_base_b ; -- Begin function _ZN9rocsparseL22bsrxmvn_general_kernelILj1024ELj32EfiiDF16_DF16_fEEv20rocsparse_direction_NS_24const_host_device_scalarIT1_EET3_PKS5_PKT2_SA_S7_PKT4_S5_PKT5_S4_PT6_21rocsparse_index_base_b
	.p2align	8
	.type	_ZN9rocsparseL22bsrxmvn_general_kernelILj1024ELj32EfiiDF16_DF16_fEEv20rocsparse_direction_NS_24const_host_device_scalarIT1_EET3_PKS5_PKT2_SA_S7_PKT4_S5_PKT5_S4_PT6_21rocsparse_index_base_b,@function
_ZN9rocsparseL22bsrxmvn_general_kernelILj1024ELj32EfiiDF16_DF16_fEEv20rocsparse_direction_NS_24const_host_device_scalarIT1_EET3_PKS5_PKT2_SA_S7_PKT4_S5_PKT5_S4_PT6_21rocsparse_index_base_b: ; @_ZN9rocsparseL22bsrxmvn_general_kernelILj1024ELj32EfiiDF16_DF16_fEEv20rocsparse_direction_NS_24const_host_device_scalarIT1_EET3_PKS5_PKT2_SA_S7_PKT4_S5_PKT5_S4_PT6_21rocsparse_index_base_b
; %bb.0:
	s_load_dwordx2 s[16:17], s[4:5], 0x60
	s_load_dwordx2 s[18:19], s[4:5], 0x8
	;; [unrolled: 1-line block ×3, first 2 shown]
	s_waitcnt lgkmcnt(0)
	s_bitcmp1_b32 s17, 0
	s_cselect_b64 s[2:3], -1, 0
	s_xor_b64 s[0:1], s[2:3], -1
	s_and_b64 vcc, exec, s[2:3]
	s_cbranch_vccnz .LBB56_2
; %bb.1:
	s_load_dword s18, s[18:19], 0x0
.LBB56_2:
	s_andn2_b64 vcc, exec, s[0:1]
	s_cbranch_vccnz .LBB56_4
; %bb.3:
	s_load_dword s20, s[20:21], 0x0
.LBB56_4:
	s_waitcnt lgkmcnt(0)
	v_cmp_neq_f32_e64 s[0:1], s18, 0
	v_cmp_neq_f32_e64 s[2:3], s20, 1.0
	s_or_b64 s[0:1], s[0:1], s[2:3]
	s_andn2_b64 vcc, exec, s[0:1]
	s_cbranch_vccnz .LBB56_26
; %bb.5:
	s_load_dwordx2 s[0:1], s[4:5], 0x18
	s_waitcnt lgkmcnt(0)
	s_cmp_eq_u64 s[0:1], 0
	s_cbranch_scc1 .LBB56_7
; %bb.6:
	s_ashr_i32 s7, s6, 31
	s_lshl_b64 s[2:3], s[6:7], 2
	s_add_u32 s0, s0, s2
	s_addc_u32 s1, s1, s3
	s_load_dword s0, s[0:1], 0x0
	s_waitcnt lgkmcnt(0)
	s_sub_i32 s6, s0, s16
.LBB56_7:
	s_load_dword s17, s[4:5], 0x40
	v_lshrrev_b32_e32 v2, 5, v0
	s_waitcnt lgkmcnt(0)
	v_cmp_gt_i32_e32 vcc, s17, v2
	s_and_saveexec_b64 s[0:1], vcc
	s_cbranch_execz .LBB56_26
; %bb.8:
	s_load_dwordx8 s[8:15], s[4:5], 0x20
	s_ashr_i32 s7, s6, 31
	s_lshl_b64 s[0:1], s[6:7], 2
	s_mul_hi_u32 s21, s17, s17
	s_mul_i32 s33, s17, s17
	s_waitcnt lgkmcnt(0)
	s_add_u32 s2, s8, s0
	s_addc_u32 s3, s9, s1
	s_load_dword s7, s[2:3], 0x0
	s_load_dwordx2 s[8:9], s[4:5], 0x58
	s_load_dwordx2 s[22:23], s[4:5], 0x48
	s_mul_i32 s37, s6, s17
	v_and_b32_e32 v0, 31, v0
	s_waitcnt lgkmcnt(0)
	s_sub_i32 s19, s7, s16
	s_add_u32 s2, s2, 4
	s_addc_u32 s3, s3, 0
	s_add_u32 s0, s10, s0
	s_addc_u32 s1, s11, s1
	s_cmp_eq_u64 s[10:11], 0
	s_cselect_b32 s1, s3, s1
	s_cselect_b32 s0, s2, s0
	s_load_dword s2, s[0:1], 0x0
	s_load_dword s3, s[4:5], 0x0
	s_mul_hi_u32 s28, s19, s33
	v_mov_b32_e32 v3, 0
	s_mov_b64 s[24:25], 0
	s_waitcnt lgkmcnt(0)
	s_sub_i32 s36, s2, s16
	s_cmp_lt_i32 s7, s2
	s_cselect_b64 s[4:5], -1, 0
	s_cmp_lg_u32 s3, 0
	s_cselect_b64 s[10:11], -1, 0
	s_ashr_i32 s6, s19, 31
	s_mul_i32 s7, s19, s21
	s_add_i32 s7, s28, s7
	s_mul_i32 s6, s6, s33
	v_cndmask_b32_e64 v4, 0, 1, s[4:5]
	v_cmp_gt_u32_e64 s[0:1], s17, v0
	v_cmp_eq_u32_e64 s[2:3], 31, v0
	v_cmp_eq_f32_e64 s[26:27], s20, 0
	s_add_i32 s38, s7, s6
	s_mul_i32 s39, s19, s33
	v_mul_lo_u32 v12, s17, v2
	s_lshl_b32 s40, s17, 5
	v_mov_b32_e32 v1, v3
	v_mul_lo_u32 v13, s17, v0
	v_cmp_ne_u32_e64 s[4:5], 1, v4
	s_branch .LBB56_10
.LBB56_9:                               ;   in Loop: Header=BB56_10 Depth=1
	s_or_b64 exec, exec, s[6:7]
	v_add_u32_e32 v2, 32, v2
	v_cmp_le_i32_e32 vcc, s17, v2
	s_or_b64 s[24:25], vcc, s[24:25]
	v_add_u32_e32 v12, s40, v12
	s_andn2_b64 exec, exec, s[24:25]
	s_cbranch_execz .LBB56_26
.LBB56_10:                              ; =>This Loop Header: Depth=1
                                        ;     Child Loop BB56_14 Depth 2
                                        ;       Child Loop BB56_17 Depth 3
	s_and_b64 vcc, exec, s[4:5]
	v_mov_b32_e32 v14, 0
	s_cbranch_vccnz .LBB56_21
; %bb.11:                               ;   in Loop: Header=BB56_10 Depth=1
	v_ashrrev_i32_e32 v5, 31, v12
	v_mov_b32_e32 v6, s38
	v_add_co_u32_e32 v4, vcc, s39, v12
	v_addc_co_u32_e32 v5, vcc, v6, v5, vcc
	v_mov_b32_e32 v14, 0
	s_mov_b32 s6, s19
	s_branch .LBB56_14
.LBB56_12:                              ;   in Loop: Header=BB56_14 Depth=2
	s_or_b64 exec, exec, s[30:31]
.LBB56_13:                              ;   in Loop: Header=BB56_14 Depth=2
	s_or_b64 exec, exec, s[28:29]
	s_add_i32 s6, s6, 1
	v_mov_b32_e32 v6, s21
	v_add_co_u32_e32 v4, vcc, s33, v4
	s_cmp_ge_i32 s6, s36
	v_addc_co_u32_e32 v5, vcc, v5, v6, vcc
	s_cbranch_scc1 .LBB56_21
.LBB56_14:                              ;   Parent Loop BB56_10 Depth=1
                                        ; =>  This Loop Header: Depth=2
                                        ;       Child Loop BB56_17 Depth 3
	s_and_saveexec_b64 s[28:29], s[0:1]
	s_cbranch_execz .LBB56_13
; %bb.15:                               ;   in Loop: Header=BB56_14 Depth=2
	s_ashr_i32 s7, s6, 31
	s_lshl_b64 s[30:31], s[6:7], 2
	s_add_u32 s30, s12, s30
	s_addc_u32 s31, s13, s31
	s_load_dword s30, s[30:31], 0x0
	s_mul_i32 s31, s21, s6
	v_mov_b32_e32 v6, s6
	s_mul_i32 s7, s33, s7
	s_add_i32 s7, s7, s31
	s_waitcnt lgkmcnt(0)
	s_sub_i32 s34, s30, s16
	v_mad_u64_u32 v[6:7], s[30:31], s33, v6, v[2:3]
	v_add_u32_e32 v7, s7, v7
	s_mul_i32 s7, s34, s17
	s_mov_b64 s[30:31], 0
	v_mov_b32_e32 v15, v13
	v_pk_mov_b32 v[8:9], v[0:1], v[0:1] op_sel:[0,1]
	s_branch .LBB56_17
.LBB56_16:                              ;   in Loop: Header=BB56_17 Depth=3
	v_lshlrev_b64 v[10:11], 1, v[10:11]
	v_mov_b32_e32 v16, s15
	v_add_co_u32_e32 v10, vcc, s14, v10
	v_addc_co_u32_e32 v11, vcc, v16, v11, vcc
	global_load_ushort v16, v[10:11], off
	v_add_u32_e32 v10, s7, v8
	v_ashrrev_i32_e32 v11, 31, v10
	v_lshlrev_b64 v[10:11], 1, v[10:11]
	v_mov_b32_e32 v17, s23
	v_add_co_u32_e32 v10, vcc, s22, v10
	v_addc_co_u32_e32 v11, vcc, v17, v11, vcc
	global_load_ushort v10, v[10:11], off
	v_add_co_u32_e32 v8, vcc, 32, v8
	v_addc_co_u32_e32 v9, vcc, 0, v9, vcc
	v_cmp_le_i32_e32 vcc, s17, v8
	s_or_b64 s[30:31], vcc, s[30:31]
	v_add_u32_e32 v15, s40, v15
	s_waitcnt vmcnt(0)
	v_fma_mix_f32 v14, v16, v10, v14 op_sel_hi:[1,1,0]
	s_andn2_b64 exec, exec, s[30:31]
	s_cbranch_execz .LBB56_12
.LBB56_17:                              ;   Parent Loop BB56_10 Depth=1
                                        ;     Parent Loop BB56_14 Depth=2
                                        ; =>    This Inner Loop Header: Depth=3
	s_and_b64 vcc, exec, s[10:11]
	s_cbranch_vccz .LBB56_19
; %bb.18:                               ;   in Loop: Header=BB56_17 Depth=3
	v_ashrrev_i32_e32 v11, 31, v15
	v_add_co_u32_e32 v10, vcc, v6, v15
	v_addc_co_u32_e32 v11, vcc, v7, v11, vcc
	s_cbranch_execnz .LBB56_16
	s_branch .LBB56_20
.LBB56_19:                              ;   in Loop: Header=BB56_17 Depth=3
                                        ; implicit-def: $vgpr10_vgpr11
.LBB56_20:                              ;   in Loop: Header=BB56_17 Depth=3
	v_add_co_u32_e32 v10, vcc, v4, v8
	v_addc_co_u32_e32 v11, vcc, v5, v9, vcc
	s_branch .LBB56_16
.LBB56_21:                              ;   in Loop: Header=BB56_10 Depth=1
	s_nop 0
	v_mov_b32_dpp v4, v14 row_shr:1 row_mask:0xf bank_mask:0xf
	v_add_f32_e32 v4, v14, v4
	s_nop 1
	v_mov_b32_dpp v5, v4 row_shr:2 row_mask:0xf bank_mask:0xf
	v_add_f32_e32 v4, v4, v5
	;; [unrolled: 3-line block ×4, first 2 shown]
	s_nop 1
	v_mov_b32_dpp v5, v4 row_bcast:15 row_mask:0xa bank_mask:0xf
	s_and_saveexec_b64 s[6:7], s[2:3]
	s_cbranch_execz .LBB56_9
; %bb.22:                               ;   in Loop: Header=BB56_10 Depth=1
	v_add_f32_e32 v4, v4, v5
	v_mul_f32_e32 v6, s18, v4
	v_add_u32_e32 v4, s37, v2
	s_and_b64 vcc, exec, s[26:27]
	v_ashrrev_i32_e32 v5, 31, v4
	s_cbranch_vccz .LBB56_24
; %bb.23:                               ;   in Loop: Header=BB56_10 Depth=1
	v_lshlrev_b64 v[8:9], 2, v[4:5]
	v_mov_b32_e32 v7, s9
	v_add_co_u32_e32 v8, vcc, s8, v8
	v_addc_co_u32_e32 v9, vcc, v7, v9, vcc
	global_store_dword v[8:9], v6, off
	s_cbranch_execnz .LBB56_9
	s_branch .LBB56_25
.LBB56_24:                              ;   in Loop: Header=BB56_10 Depth=1
.LBB56_25:                              ;   in Loop: Header=BB56_10 Depth=1
	v_lshlrev_b64 v[4:5], 2, v[4:5]
	v_mov_b32_e32 v7, s9
	v_add_co_u32_e32 v4, vcc, s8, v4
	v_addc_co_u32_e32 v5, vcc, v7, v5, vcc
	global_load_dword v7, v[4:5], off
	s_waitcnt vmcnt(0)
	v_fmac_f32_e32 v6, s20, v7
	global_store_dword v[4:5], v6, off
	s_branch .LBB56_9
.LBB56_26:
	s_endpgm
	.section	.rodata,"a",@progbits
	.p2align	6, 0x0
	.amdhsa_kernel _ZN9rocsparseL22bsrxmvn_general_kernelILj1024ELj32EfiiDF16_DF16_fEEv20rocsparse_direction_NS_24const_host_device_scalarIT1_EET3_PKS5_PKT2_SA_S7_PKT4_S5_PKT5_S4_PT6_21rocsparse_index_base_b
		.amdhsa_group_segment_fixed_size 0
		.amdhsa_private_segment_fixed_size 0
		.amdhsa_kernarg_size 104
		.amdhsa_user_sgpr_count 6
		.amdhsa_user_sgpr_private_segment_buffer 1
		.amdhsa_user_sgpr_dispatch_ptr 0
		.amdhsa_user_sgpr_queue_ptr 0
		.amdhsa_user_sgpr_kernarg_segment_ptr 1
		.amdhsa_user_sgpr_dispatch_id 0
		.amdhsa_user_sgpr_flat_scratch_init 0
		.amdhsa_user_sgpr_kernarg_preload_length 0
		.amdhsa_user_sgpr_kernarg_preload_offset 0
		.amdhsa_user_sgpr_private_segment_size 0
		.amdhsa_uses_dynamic_stack 0
		.amdhsa_system_sgpr_private_segment_wavefront_offset 0
		.amdhsa_system_sgpr_workgroup_id_x 1
		.amdhsa_system_sgpr_workgroup_id_y 0
		.amdhsa_system_sgpr_workgroup_id_z 0
		.amdhsa_system_sgpr_workgroup_info 0
		.amdhsa_system_vgpr_workitem_id 0
		.amdhsa_next_free_vgpr 18
		.amdhsa_next_free_sgpr 41
		.amdhsa_accum_offset 20
		.amdhsa_reserve_vcc 1
		.amdhsa_reserve_flat_scratch 0
		.amdhsa_float_round_mode_32 0
		.amdhsa_float_round_mode_16_64 0
		.amdhsa_float_denorm_mode_32 3
		.amdhsa_float_denorm_mode_16_64 3
		.amdhsa_dx10_clamp 1
		.amdhsa_ieee_mode 1
		.amdhsa_fp16_overflow 0
		.amdhsa_tg_split 0
		.amdhsa_exception_fp_ieee_invalid_op 0
		.amdhsa_exception_fp_denorm_src 0
		.amdhsa_exception_fp_ieee_div_zero 0
		.amdhsa_exception_fp_ieee_overflow 0
		.amdhsa_exception_fp_ieee_underflow 0
		.amdhsa_exception_fp_ieee_inexact 0
		.amdhsa_exception_int_div_zero 0
	.end_amdhsa_kernel
	.section	.text._ZN9rocsparseL22bsrxmvn_general_kernelILj1024ELj32EfiiDF16_DF16_fEEv20rocsparse_direction_NS_24const_host_device_scalarIT1_EET3_PKS5_PKT2_SA_S7_PKT4_S5_PKT5_S4_PT6_21rocsparse_index_base_b,"axG",@progbits,_ZN9rocsparseL22bsrxmvn_general_kernelILj1024ELj32EfiiDF16_DF16_fEEv20rocsparse_direction_NS_24const_host_device_scalarIT1_EET3_PKS5_PKT2_SA_S7_PKT4_S5_PKT5_S4_PT6_21rocsparse_index_base_b,comdat
.Lfunc_end56:
	.size	_ZN9rocsparseL22bsrxmvn_general_kernelILj1024ELj32EfiiDF16_DF16_fEEv20rocsparse_direction_NS_24const_host_device_scalarIT1_EET3_PKS5_PKT2_SA_S7_PKT4_S5_PKT5_S4_PT6_21rocsparse_index_base_b, .Lfunc_end56-_ZN9rocsparseL22bsrxmvn_general_kernelILj1024ELj32EfiiDF16_DF16_fEEv20rocsparse_direction_NS_24const_host_device_scalarIT1_EET3_PKS5_PKT2_SA_S7_PKT4_S5_PKT5_S4_PT6_21rocsparse_index_base_b
                                        ; -- End function
	.section	.AMDGPU.csdata,"",@progbits
; Kernel info:
; codeLenInByte = 964
; NumSgprs: 45
; NumVgprs: 18
; NumAgprs: 0
; TotalNumVgprs: 18
; ScratchSize: 0
; MemoryBound: 0
; FloatMode: 240
; IeeeMode: 1
; LDSByteSize: 0 bytes/workgroup (compile time only)
; SGPRBlocks: 5
; VGPRBlocks: 2
; NumSGPRsForWavesPerEU: 45
; NumVGPRsForWavesPerEU: 18
; AccumOffset: 20
; Occupancy: 8
; WaveLimiterHint : 1
; COMPUTE_PGM_RSRC2:SCRATCH_EN: 0
; COMPUTE_PGM_RSRC2:USER_SGPR: 6
; COMPUTE_PGM_RSRC2:TRAP_HANDLER: 0
; COMPUTE_PGM_RSRC2:TGID_X_EN: 1
; COMPUTE_PGM_RSRC2:TGID_Y_EN: 0
; COMPUTE_PGM_RSRC2:TGID_Z_EN: 0
; COMPUTE_PGM_RSRC2:TIDIG_COMP_CNT: 0
; COMPUTE_PGM_RSRC3_GFX90A:ACCUM_OFFSET: 4
; COMPUTE_PGM_RSRC3_GFX90A:TG_SPLIT: 0
	.section	.text._ZN9rocsparseL22bsrxmvn_general_kernelILj64ELj8EfliDF16_DF16_fEEv20rocsparse_direction_NS_24const_host_device_scalarIT1_EET3_PKS5_PKT2_SA_S7_PKT4_S5_PKT5_S4_PT6_21rocsparse_index_base_b,"axG",@progbits,_ZN9rocsparseL22bsrxmvn_general_kernelILj64ELj8EfliDF16_DF16_fEEv20rocsparse_direction_NS_24const_host_device_scalarIT1_EET3_PKS5_PKT2_SA_S7_PKT4_S5_PKT5_S4_PT6_21rocsparse_index_base_b,comdat
	.globl	_ZN9rocsparseL22bsrxmvn_general_kernelILj64ELj8EfliDF16_DF16_fEEv20rocsparse_direction_NS_24const_host_device_scalarIT1_EET3_PKS5_PKT2_SA_S7_PKT4_S5_PKT5_S4_PT6_21rocsparse_index_base_b ; -- Begin function _ZN9rocsparseL22bsrxmvn_general_kernelILj64ELj8EfliDF16_DF16_fEEv20rocsparse_direction_NS_24const_host_device_scalarIT1_EET3_PKS5_PKT2_SA_S7_PKT4_S5_PKT5_S4_PT6_21rocsparse_index_base_b
	.p2align	8
	.type	_ZN9rocsparseL22bsrxmvn_general_kernelILj64ELj8EfliDF16_DF16_fEEv20rocsparse_direction_NS_24const_host_device_scalarIT1_EET3_PKS5_PKT2_SA_S7_PKT4_S5_PKT5_S4_PT6_21rocsparse_index_base_b,@function
_ZN9rocsparseL22bsrxmvn_general_kernelILj64ELj8EfliDF16_DF16_fEEv20rocsparse_direction_NS_24const_host_device_scalarIT1_EET3_PKS5_PKT2_SA_S7_PKT4_S5_PKT5_S4_PT6_21rocsparse_index_base_b: ; @_ZN9rocsparseL22bsrxmvn_general_kernelILj64ELj8EfliDF16_DF16_fEEv20rocsparse_direction_NS_24const_host_device_scalarIT1_EET3_PKS5_PKT2_SA_S7_PKT4_S5_PKT5_S4_PT6_21rocsparse_index_base_b
; %bb.0:
	s_load_dwordx2 s[16:17], s[4:5], 0x60
	s_load_dwordx2 s[18:19], s[4:5], 0x8
	;; [unrolled: 1-line block ×3, first 2 shown]
	s_waitcnt lgkmcnt(0)
	s_bitcmp1_b32 s17, 0
	s_cselect_b64 s[2:3], -1, 0
	s_xor_b64 s[0:1], s[2:3], -1
	s_and_b64 vcc, exec, s[2:3]
	s_cbranch_vccnz .LBB57_2
; %bb.1:
	s_load_dword s18, s[18:19], 0x0
.LBB57_2:
	s_andn2_b64 vcc, exec, s[0:1]
	s_cbranch_vccnz .LBB57_4
; %bb.3:
	s_load_dword s20, s[20:21], 0x0
.LBB57_4:
	s_waitcnt lgkmcnt(0)
	v_cmp_neq_f32_e64 s[0:1], s18, 0
	v_cmp_neq_f32_e64 s[2:3], s20, 1.0
	s_or_b64 s[0:1], s[0:1], s[2:3]
	s_andn2_b64 vcc, exec, s[0:1]
	s_cbranch_vccnz .LBB57_26
; %bb.5:
	s_load_dwordx2 s[0:1], s[4:5], 0x18
	s_waitcnt lgkmcnt(0)
	s_cmp_eq_u64 s[0:1], 0
	s_cbranch_scc1 .LBB57_7
; %bb.6:
	s_ashr_i32 s7, s6, 31
	s_lshl_b64 s[2:3], s[6:7], 2
	s_add_u32 s0, s0, s2
	s_addc_u32 s1, s1, s3
	s_load_dword s0, s[0:1], 0x0
	s_waitcnt lgkmcnt(0)
	s_sub_i32 s6, s0, s16
.LBB57_7:
	s_load_dword s17, s[4:5], 0x40
	v_lshrrev_b32_e32 v2, 3, v0
	s_waitcnt lgkmcnt(0)
	v_cmp_gt_i32_e32 vcc, s17, v2
	s_and_saveexec_b64 s[0:1], vcc
	s_cbranch_execz .LBB57_26
; %bb.8:
	s_load_dwordx8 s[8:15], s[4:5], 0x20
	s_ashr_i32 s7, s6, 31
	s_lshl_b64 s[0:1], s[6:7], 3
	s_mul_hi_u32 s19, s17, s17
	s_mul_i32 s21, s17, s17
	s_waitcnt lgkmcnt(0)
	s_add_u32 s2, s8, s0
	s_addc_u32 s3, s9, s1
	s_load_dwordx2 s[34:35], s[2:3], 0x0
	s_load_dwordx2 s[8:9], s[4:5], 0x58
	s_load_dwordx2 s[22:23], s[4:5], 0x48
	v_and_b32_e32 v0, 7, v0
	s_mov_b64 s[24:25], 0
	s_waitcnt lgkmcnt(0)
	s_sub_u32 s26, s34, s16
	s_subb_u32 s27, s35, 0
	s_add_u32 s2, s2, 8
	s_addc_u32 s3, s3, 0
	s_add_u32 s0, s10, s0
	s_addc_u32 s1, s11, s1
	s_cmp_eq_u64 s[10:11], 0
	s_cselect_b32 s1, s3, s1
	s_cselect_b32 s0, s2, s0
	s_load_dwordx2 s[2:3], s[0:1], 0x0
	s_load_dword s7, s[4:5], 0x0
	s_mul_i32 s4, s26, s19
	s_mul_hi_u32 s5, s26, s21
	v_cmp_gt_u32_e64 s[0:1], s17, v0
	s_waitcnt lgkmcnt(0)
	s_sub_u32 s10, s2, s16
	v_pk_mov_b32 v[4:5], s[2:3], s[2:3] op_sel:[0,1]
	s_subb_u32 s11, s3, 0
	s_cmp_lg_u32 s7, 0
	v_cmp_lt_i64_e32 vcc, s[34:35], v[4:5]
	s_cselect_b64 s[28:29], -1, 0
	s_add_i32 s4, s5, s4
	s_mul_i32 s5, s27, s21
	v_cndmask_b32_e64 v3, 0, 1, vcc
	v_cmp_eq_u32_e64 s[2:3], 7, v0
	v_cmp_eq_f32_e64 s[30:31], s20, 0
	s_mul_i32 s33, s6, s17
	s_add_i32 s40, s4, s5
	s_mul_i32 s41, s26, s21
	v_mul_lo_u32 v12, s17, v2
	s_lshl_b32 s42, s17, 3
	v_mov_b32_e32 v1, 0
	v_mul_lo_u32 v13, s17, v0
	v_cmp_ne_u32_e64 s[4:5], 1, v3
	s_branch .LBB57_10
.LBB57_9:                               ;   in Loop: Header=BB57_10 Depth=1
	s_or_b64 exec, exec, s[6:7]
	v_add_u32_e32 v2, 8, v2
	v_cmp_le_i32_e32 vcc, s17, v2
	s_or_b64 s[24:25], vcc, s[24:25]
	v_add_u32_e32 v12, s42, v12
	s_andn2_b64 exec, exec, s[24:25]
	s_cbranch_execz .LBB57_26
.LBB57_10:                              ; =>This Loop Header: Depth=1
                                        ;     Child Loop BB57_14 Depth 2
                                        ;       Child Loop BB57_17 Depth 3
	s_and_b64 vcc, exec, s[4:5]
	v_mov_b32_e32 v14, 0
	s_cbranch_vccnz .LBB57_21
; %bb.11:                               ;   in Loop: Header=BB57_10 Depth=1
	v_ashrrev_i32_e32 v3, 31, v12
	v_mov_b32_e32 v5, s40
	v_add_co_u32_e32 v4, vcc, s41, v12
	v_addc_co_u32_e32 v5, vcc, v5, v3, vcc
	v_ashrrev_i32_e32 v3, 31, v2
	v_mov_b32_e32 v14, 0
	s_mov_b64 s[6:7], s[26:27]
	s_branch .LBB57_14
.LBB57_12:                              ;   in Loop: Header=BB57_14 Depth=2
	s_or_b64 exec, exec, s[36:37]
.LBB57_13:                              ;   in Loop: Header=BB57_14 Depth=2
	s_or_b64 exec, exec, s[34:35]
	s_add_u32 s6, s6, 1
	v_mov_b32_e32 v6, s19
	v_add_co_u32_e32 v4, vcc, s21, v4
	s_addc_u32 s7, s7, 0
	v_addc_co_u32_e32 v5, vcc, v5, v6, vcc
	v_pk_mov_b32 v[6:7], s[10:11], s[10:11] op_sel:[0,1]
	v_cmp_ge_i64_e32 vcc, s[6:7], v[6:7]
	s_cbranch_vccnz .LBB57_21
.LBB57_14:                              ;   Parent Loop BB57_10 Depth=1
                                        ; =>  This Loop Header: Depth=2
                                        ;       Child Loop BB57_17 Depth 3
	s_and_saveexec_b64 s[34:35], s[0:1]
	s_cbranch_execz .LBB57_13
; %bb.15:                               ;   in Loop: Header=BB57_14 Depth=2
	s_lshl_b64 s[36:37], s[6:7], 2
	s_add_u32 s36, s12, s36
	s_addc_u32 s37, s13, s37
	s_load_dword s36, s[36:37], 0x0
	s_mul_i32 s37, s19, s6
	s_mul_i32 s38, s21, s7
	v_mov_b32_e32 v6, s6
	s_add_i32 s38, s38, s37
	s_waitcnt lgkmcnt(0)
	s_sub_i32 s39, s36, s16
	v_mad_u64_u32 v[6:7], s[36:37], s21, v6, v[2:3]
	v_add_u32_e32 v7, s38, v7
	s_mul_i32 s43, s39, s17
	s_mov_b64 s[36:37], 0
	v_mov_b32_e32 v15, v13
	v_pk_mov_b32 v[8:9], v[0:1], v[0:1] op_sel:[0,1]
	s_branch .LBB57_17
.LBB57_16:                              ;   in Loop: Header=BB57_17 Depth=3
	v_lshlrev_b64 v[10:11], 1, v[10:11]
	v_mov_b32_e32 v16, s15
	v_add_co_u32_e32 v10, vcc, s14, v10
	v_addc_co_u32_e32 v11, vcc, v16, v11, vcc
	global_load_ushort v16, v[10:11], off
	v_add_u32_e32 v10, s43, v8
	v_ashrrev_i32_e32 v11, 31, v10
	v_lshlrev_b64 v[10:11], 1, v[10:11]
	v_mov_b32_e32 v17, s23
	v_add_co_u32_e32 v10, vcc, s22, v10
	v_addc_co_u32_e32 v11, vcc, v17, v11, vcc
	global_load_ushort v10, v[10:11], off
	v_add_co_u32_e32 v8, vcc, 8, v8
	v_addc_co_u32_e32 v9, vcc, 0, v9, vcc
	v_cmp_le_i32_e32 vcc, s17, v8
	s_or_b64 s[36:37], vcc, s[36:37]
	v_add_u32_e32 v15, s42, v15
	s_waitcnt vmcnt(0)
	v_fma_mix_f32 v14, v16, v10, v14 op_sel_hi:[1,1,0]
	s_andn2_b64 exec, exec, s[36:37]
	s_cbranch_execz .LBB57_12
.LBB57_17:                              ;   Parent Loop BB57_10 Depth=1
                                        ;     Parent Loop BB57_14 Depth=2
                                        ; =>    This Inner Loop Header: Depth=3
	s_and_b64 vcc, exec, s[28:29]
	s_cbranch_vccz .LBB57_19
; %bb.18:                               ;   in Loop: Header=BB57_17 Depth=3
	v_ashrrev_i32_e32 v11, 31, v15
	v_add_co_u32_e32 v10, vcc, v6, v15
	v_addc_co_u32_e32 v11, vcc, v7, v11, vcc
	s_cbranch_execnz .LBB57_16
	s_branch .LBB57_20
.LBB57_19:                              ;   in Loop: Header=BB57_17 Depth=3
                                        ; implicit-def: $vgpr10_vgpr11
.LBB57_20:                              ;   in Loop: Header=BB57_17 Depth=3
	v_add_co_u32_e32 v10, vcc, v4, v8
	v_addc_co_u32_e32 v11, vcc, v5, v9, vcc
	s_branch .LBB57_16
.LBB57_21:                              ;   in Loop: Header=BB57_10 Depth=1
	s_nop 0
	v_mov_b32_dpp v3, v14 row_shr:1 row_mask:0xf bank_mask:0xf
	v_add_f32_e32 v3, v14, v3
	s_nop 1
	v_mov_b32_dpp v4, v3 row_shr:2 row_mask:0xf bank_mask:0xf
	v_add_f32_e32 v3, v3, v4
	s_nop 1
	v_mov_b32_dpp v4, v3 row_shr:4 row_mask:0xf bank_mask:0xe
	s_and_saveexec_b64 s[6:7], s[2:3]
	s_cbranch_execz .LBB57_9
; %bb.22:                               ;   in Loop: Header=BB57_10 Depth=1
	v_add_f32_e32 v3, v3, v4
	v_add_u32_e32 v4, s33, v2
	s_and_b64 vcc, exec, s[30:31]
	v_mul_f32_e32 v3, s18, v3
	v_ashrrev_i32_e32 v5, 31, v4
	s_cbranch_vccz .LBB57_24
; %bb.23:                               ;   in Loop: Header=BB57_10 Depth=1
	v_lshlrev_b64 v[6:7], 2, v[4:5]
	v_mov_b32_e32 v8, s9
	v_add_co_u32_e32 v6, vcc, s8, v6
	v_addc_co_u32_e32 v7, vcc, v8, v7, vcc
	global_store_dword v[6:7], v3, off
	s_cbranch_execnz .LBB57_9
	s_branch .LBB57_25
.LBB57_24:                              ;   in Loop: Header=BB57_10 Depth=1
.LBB57_25:                              ;   in Loop: Header=BB57_10 Depth=1
	v_lshlrev_b64 v[4:5], 2, v[4:5]
	v_mov_b32_e32 v6, s9
	v_add_co_u32_e32 v4, vcc, s8, v4
	v_addc_co_u32_e32 v5, vcc, v6, v5, vcc
	global_load_dword v6, v[4:5], off
	s_waitcnt vmcnt(0)
	v_fmac_f32_e32 v3, s20, v6
	global_store_dword v[4:5], v3, off
	s_branch .LBB57_9
.LBB57_26:
	s_endpgm
	.section	.rodata,"a",@progbits
	.p2align	6, 0x0
	.amdhsa_kernel _ZN9rocsparseL22bsrxmvn_general_kernelILj64ELj8EfliDF16_DF16_fEEv20rocsparse_direction_NS_24const_host_device_scalarIT1_EET3_PKS5_PKT2_SA_S7_PKT4_S5_PKT5_S4_PT6_21rocsparse_index_base_b
		.amdhsa_group_segment_fixed_size 0
		.amdhsa_private_segment_fixed_size 0
		.amdhsa_kernarg_size 104
		.amdhsa_user_sgpr_count 6
		.amdhsa_user_sgpr_private_segment_buffer 1
		.amdhsa_user_sgpr_dispatch_ptr 0
		.amdhsa_user_sgpr_queue_ptr 0
		.amdhsa_user_sgpr_kernarg_segment_ptr 1
		.amdhsa_user_sgpr_dispatch_id 0
		.amdhsa_user_sgpr_flat_scratch_init 0
		.amdhsa_user_sgpr_kernarg_preload_length 0
		.amdhsa_user_sgpr_kernarg_preload_offset 0
		.amdhsa_user_sgpr_private_segment_size 0
		.amdhsa_uses_dynamic_stack 0
		.amdhsa_system_sgpr_private_segment_wavefront_offset 0
		.amdhsa_system_sgpr_workgroup_id_x 1
		.amdhsa_system_sgpr_workgroup_id_y 0
		.amdhsa_system_sgpr_workgroup_id_z 0
		.amdhsa_system_sgpr_workgroup_info 0
		.amdhsa_system_vgpr_workitem_id 0
		.amdhsa_next_free_vgpr 18
		.amdhsa_next_free_sgpr 44
		.amdhsa_accum_offset 20
		.amdhsa_reserve_vcc 1
		.amdhsa_reserve_flat_scratch 0
		.amdhsa_float_round_mode_32 0
		.amdhsa_float_round_mode_16_64 0
		.amdhsa_float_denorm_mode_32 3
		.amdhsa_float_denorm_mode_16_64 3
		.amdhsa_dx10_clamp 1
		.amdhsa_ieee_mode 1
		.amdhsa_fp16_overflow 0
		.amdhsa_tg_split 0
		.amdhsa_exception_fp_ieee_invalid_op 0
		.amdhsa_exception_fp_denorm_src 0
		.amdhsa_exception_fp_ieee_div_zero 0
		.amdhsa_exception_fp_ieee_overflow 0
		.amdhsa_exception_fp_ieee_underflow 0
		.amdhsa_exception_fp_ieee_inexact 0
		.amdhsa_exception_int_div_zero 0
	.end_amdhsa_kernel
	.section	.text._ZN9rocsparseL22bsrxmvn_general_kernelILj64ELj8EfliDF16_DF16_fEEv20rocsparse_direction_NS_24const_host_device_scalarIT1_EET3_PKS5_PKT2_SA_S7_PKT4_S5_PKT5_S4_PT6_21rocsparse_index_base_b,"axG",@progbits,_ZN9rocsparseL22bsrxmvn_general_kernelILj64ELj8EfliDF16_DF16_fEEv20rocsparse_direction_NS_24const_host_device_scalarIT1_EET3_PKS5_PKT2_SA_S7_PKT4_S5_PKT5_S4_PT6_21rocsparse_index_base_b,comdat
.Lfunc_end57:
	.size	_ZN9rocsparseL22bsrxmvn_general_kernelILj64ELj8EfliDF16_DF16_fEEv20rocsparse_direction_NS_24const_host_device_scalarIT1_EET3_PKS5_PKT2_SA_S7_PKT4_S5_PKT5_S4_PT6_21rocsparse_index_base_b, .Lfunc_end57-_ZN9rocsparseL22bsrxmvn_general_kernelILj64ELj8EfliDF16_DF16_fEEv20rocsparse_direction_NS_24const_host_device_scalarIT1_EET3_PKS5_PKT2_SA_S7_PKT4_S5_PKT5_S4_PT6_21rocsparse_index_base_b
                                        ; -- End function
	.section	.AMDGPU.csdata,"",@progbits
; Kernel info:
; codeLenInByte = 948
; NumSgprs: 48
; NumVgprs: 18
; NumAgprs: 0
; TotalNumVgprs: 18
; ScratchSize: 0
; MemoryBound: 0
; FloatMode: 240
; IeeeMode: 1
; LDSByteSize: 0 bytes/workgroup (compile time only)
; SGPRBlocks: 5
; VGPRBlocks: 2
; NumSGPRsForWavesPerEU: 48
; NumVGPRsForWavesPerEU: 18
; AccumOffset: 20
; Occupancy: 8
; WaveLimiterHint : 1
; COMPUTE_PGM_RSRC2:SCRATCH_EN: 0
; COMPUTE_PGM_RSRC2:USER_SGPR: 6
; COMPUTE_PGM_RSRC2:TRAP_HANDLER: 0
; COMPUTE_PGM_RSRC2:TGID_X_EN: 1
; COMPUTE_PGM_RSRC2:TGID_Y_EN: 0
; COMPUTE_PGM_RSRC2:TGID_Z_EN: 0
; COMPUTE_PGM_RSRC2:TIDIG_COMP_CNT: 0
; COMPUTE_PGM_RSRC3_GFX90A:ACCUM_OFFSET: 4
; COMPUTE_PGM_RSRC3_GFX90A:TG_SPLIT: 0
	.section	.text._ZN9rocsparseL22bsrxmvn_general_kernelILj256ELj16EfliDF16_DF16_fEEv20rocsparse_direction_NS_24const_host_device_scalarIT1_EET3_PKS5_PKT2_SA_S7_PKT4_S5_PKT5_S4_PT6_21rocsparse_index_base_b,"axG",@progbits,_ZN9rocsparseL22bsrxmvn_general_kernelILj256ELj16EfliDF16_DF16_fEEv20rocsparse_direction_NS_24const_host_device_scalarIT1_EET3_PKS5_PKT2_SA_S7_PKT4_S5_PKT5_S4_PT6_21rocsparse_index_base_b,comdat
	.globl	_ZN9rocsparseL22bsrxmvn_general_kernelILj256ELj16EfliDF16_DF16_fEEv20rocsparse_direction_NS_24const_host_device_scalarIT1_EET3_PKS5_PKT2_SA_S7_PKT4_S5_PKT5_S4_PT6_21rocsparse_index_base_b ; -- Begin function _ZN9rocsparseL22bsrxmvn_general_kernelILj256ELj16EfliDF16_DF16_fEEv20rocsparse_direction_NS_24const_host_device_scalarIT1_EET3_PKS5_PKT2_SA_S7_PKT4_S5_PKT5_S4_PT6_21rocsparse_index_base_b
	.p2align	8
	.type	_ZN9rocsparseL22bsrxmvn_general_kernelILj256ELj16EfliDF16_DF16_fEEv20rocsparse_direction_NS_24const_host_device_scalarIT1_EET3_PKS5_PKT2_SA_S7_PKT4_S5_PKT5_S4_PT6_21rocsparse_index_base_b,@function
_ZN9rocsparseL22bsrxmvn_general_kernelILj256ELj16EfliDF16_DF16_fEEv20rocsparse_direction_NS_24const_host_device_scalarIT1_EET3_PKS5_PKT2_SA_S7_PKT4_S5_PKT5_S4_PT6_21rocsparse_index_base_b: ; @_ZN9rocsparseL22bsrxmvn_general_kernelILj256ELj16EfliDF16_DF16_fEEv20rocsparse_direction_NS_24const_host_device_scalarIT1_EET3_PKS5_PKT2_SA_S7_PKT4_S5_PKT5_S4_PT6_21rocsparse_index_base_b
; %bb.0:
	s_load_dwordx2 s[16:17], s[4:5], 0x60
	s_load_dwordx2 s[18:19], s[4:5], 0x8
	;; [unrolled: 1-line block ×3, first 2 shown]
	s_waitcnt lgkmcnt(0)
	s_bitcmp1_b32 s17, 0
	s_cselect_b64 s[2:3], -1, 0
	s_xor_b64 s[0:1], s[2:3], -1
	s_and_b64 vcc, exec, s[2:3]
	s_cbranch_vccnz .LBB58_2
; %bb.1:
	s_load_dword s18, s[18:19], 0x0
.LBB58_2:
	s_andn2_b64 vcc, exec, s[0:1]
	s_cbranch_vccnz .LBB58_4
; %bb.3:
	s_load_dword s20, s[20:21], 0x0
.LBB58_4:
	s_waitcnt lgkmcnt(0)
	v_cmp_neq_f32_e64 s[0:1], s18, 0
	v_cmp_neq_f32_e64 s[2:3], s20, 1.0
	s_or_b64 s[0:1], s[0:1], s[2:3]
	s_andn2_b64 vcc, exec, s[0:1]
	s_cbranch_vccnz .LBB58_26
; %bb.5:
	s_load_dwordx2 s[0:1], s[4:5], 0x18
	s_waitcnt lgkmcnt(0)
	s_cmp_eq_u64 s[0:1], 0
	s_cbranch_scc1 .LBB58_7
; %bb.6:
	s_ashr_i32 s7, s6, 31
	s_lshl_b64 s[2:3], s[6:7], 2
	s_add_u32 s0, s0, s2
	s_addc_u32 s1, s1, s3
	s_load_dword s0, s[0:1], 0x0
	s_waitcnt lgkmcnt(0)
	s_sub_i32 s6, s0, s16
.LBB58_7:
	s_load_dword s17, s[4:5], 0x40
	v_lshrrev_b32_e32 v2, 4, v0
	s_waitcnt lgkmcnt(0)
	v_cmp_gt_i32_e32 vcc, s17, v2
	s_and_saveexec_b64 s[0:1], vcc
	s_cbranch_execz .LBB58_26
; %bb.8:
	s_load_dwordx8 s[8:15], s[4:5], 0x20
	s_ashr_i32 s7, s6, 31
	s_lshl_b64 s[0:1], s[6:7], 3
	s_mul_hi_u32 s19, s17, s17
	s_mul_i32 s21, s17, s17
	s_waitcnt lgkmcnt(0)
	s_add_u32 s2, s8, s0
	s_addc_u32 s3, s9, s1
	s_load_dwordx2 s[34:35], s[2:3], 0x0
	s_load_dwordx2 s[8:9], s[4:5], 0x58
	;; [unrolled: 1-line block ×3, first 2 shown]
	v_and_b32_e32 v0, 15, v0
	s_mov_b64 s[24:25], 0
	s_waitcnt lgkmcnt(0)
	s_sub_u32 s26, s34, s16
	s_subb_u32 s27, s35, 0
	s_add_u32 s2, s2, 8
	s_addc_u32 s3, s3, 0
	s_add_u32 s0, s10, s0
	s_addc_u32 s1, s11, s1
	s_cmp_eq_u64 s[10:11], 0
	s_cselect_b32 s1, s3, s1
	s_cselect_b32 s0, s2, s0
	s_load_dwordx2 s[2:3], s[0:1], 0x0
	s_load_dword s7, s[4:5], 0x0
	s_mul_i32 s4, s26, s19
	s_mul_hi_u32 s5, s26, s21
	v_cmp_gt_u32_e64 s[0:1], s17, v0
	s_waitcnt lgkmcnt(0)
	s_sub_u32 s10, s2, s16
	v_pk_mov_b32 v[4:5], s[2:3], s[2:3] op_sel:[0,1]
	s_subb_u32 s11, s3, 0
	s_cmp_lg_u32 s7, 0
	v_cmp_lt_i64_e32 vcc, s[34:35], v[4:5]
	s_cselect_b64 s[28:29], -1, 0
	s_add_i32 s4, s5, s4
	s_mul_i32 s5, s27, s21
	v_cndmask_b32_e64 v3, 0, 1, vcc
	v_cmp_eq_u32_e64 s[2:3], 15, v0
	v_cmp_eq_f32_e64 s[30:31], s20, 0
	s_mul_i32 s33, s6, s17
	s_add_i32 s40, s4, s5
	s_mul_i32 s41, s26, s21
	v_mul_lo_u32 v12, s17, v2
	s_lshl_b32 s42, s17, 4
	v_mov_b32_e32 v1, 0
	v_mul_lo_u32 v13, s17, v0
	v_cmp_ne_u32_e64 s[4:5], 1, v3
	s_branch .LBB58_10
.LBB58_9:                               ;   in Loop: Header=BB58_10 Depth=1
	s_or_b64 exec, exec, s[6:7]
	v_add_u32_e32 v2, 16, v2
	v_cmp_le_i32_e32 vcc, s17, v2
	s_or_b64 s[24:25], vcc, s[24:25]
	v_add_u32_e32 v12, s42, v12
	s_andn2_b64 exec, exec, s[24:25]
	s_cbranch_execz .LBB58_26
.LBB58_10:                              ; =>This Loop Header: Depth=1
                                        ;     Child Loop BB58_14 Depth 2
                                        ;       Child Loop BB58_17 Depth 3
	s_and_b64 vcc, exec, s[4:5]
	v_mov_b32_e32 v14, 0
	s_cbranch_vccnz .LBB58_21
; %bb.11:                               ;   in Loop: Header=BB58_10 Depth=1
	v_ashrrev_i32_e32 v3, 31, v12
	v_mov_b32_e32 v5, s40
	v_add_co_u32_e32 v4, vcc, s41, v12
	v_addc_co_u32_e32 v5, vcc, v5, v3, vcc
	v_ashrrev_i32_e32 v3, 31, v2
	v_mov_b32_e32 v14, 0
	s_mov_b64 s[6:7], s[26:27]
	s_branch .LBB58_14
.LBB58_12:                              ;   in Loop: Header=BB58_14 Depth=2
	s_or_b64 exec, exec, s[36:37]
.LBB58_13:                              ;   in Loop: Header=BB58_14 Depth=2
	s_or_b64 exec, exec, s[34:35]
	s_add_u32 s6, s6, 1
	v_mov_b32_e32 v6, s19
	v_add_co_u32_e32 v4, vcc, s21, v4
	s_addc_u32 s7, s7, 0
	v_addc_co_u32_e32 v5, vcc, v5, v6, vcc
	v_pk_mov_b32 v[6:7], s[10:11], s[10:11] op_sel:[0,1]
	v_cmp_ge_i64_e32 vcc, s[6:7], v[6:7]
	s_cbranch_vccnz .LBB58_21
.LBB58_14:                              ;   Parent Loop BB58_10 Depth=1
                                        ; =>  This Loop Header: Depth=2
                                        ;       Child Loop BB58_17 Depth 3
	s_and_saveexec_b64 s[34:35], s[0:1]
	s_cbranch_execz .LBB58_13
; %bb.15:                               ;   in Loop: Header=BB58_14 Depth=2
	s_lshl_b64 s[36:37], s[6:7], 2
	s_add_u32 s36, s12, s36
	s_addc_u32 s37, s13, s37
	s_load_dword s36, s[36:37], 0x0
	s_mul_i32 s37, s19, s6
	s_mul_i32 s38, s21, s7
	v_mov_b32_e32 v6, s6
	s_add_i32 s38, s38, s37
	s_waitcnt lgkmcnt(0)
	s_sub_i32 s39, s36, s16
	v_mad_u64_u32 v[6:7], s[36:37], s21, v6, v[2:3]
	v_add_u32_e32 v7, s38, v7
	s_mul_i32 s43, s39, s17
	s_mov_b64 s[36:37], 0
	v_mov_b32_e32 v15, v13
	v_pk_mov_b32 v[8:9], v[0:1], v[0:1] op_sel:[0,1]
	s_branch .LBB58_17
.LBB58_16:                              ;   in Loop: Header=BB58_17 Depth=3
	v_lshlrev_b64 v[10:11], 1, v[10:11]
	v_mov_b32_e32 v16, s15
	v_add_co_u32_e32 v10, vcc, s14, v10
	v_addc_co_u32_e32 v11, vcc, v16, v11, vcc
	global_load_ushort v16, v[10:11], off
	v_add_u32_e32 v10, s43, v8
	v_ashrrev_i32_e32 v11, 31, v10
	v_lshlrev_b64 v[10:11], 1, v[10:11]
	v_mov_b32_e32 v17, s23
	v_add_co_u32_e32 v10, vcc, s22, v10
	v_addc_co_u32_e32 v11, vcc, v17, v11, vcc
	global_load_ushort v10, v[10:11], off
	v_add_co_u32_e32 v8, vcc, 16, v8
	v_addc_co_u32_e32 v9, vcc, 0, v9, vcc
	v_cmp_le_i32_e32 vcc, s17, v8
	s_or_b64 s[36:37], vcc, s[36:37]
	v_add_u32_e32 v15, s42, v15
	s_waitcnt vmcnt(0)
	v_fma_mix_f32 v14, v16, v10, v14 op_sel_hi:[1,1,0]
	s_andn2_b64 exec, exec, s[36:37]
	s_cbranch_execz .LBB58_12
.LBB58_17:                              ;   Parent Loop BB58_10 Depth=1
                                        ;     Parent Loop BB58_14 Depth=2
                                        ; =>    This Inner Loop Header: Depth=3
	s_and_b64 vcc, exec, s[28:29]
	s_cbranch_vccz .LBB58_19
; %bb.18:                               ;   in Loop: Header=BB58_17 Depth=3
	v_ashrrev_i32_e32 v11, 31, v15
	v_add_co_u32_e32 v10, vcc, v6, v15
	v_addc_co_u32_e32 v11, vcc, v7, v11, vcc
	s_cbranch_execnz .LBB58_16
	s_branch .LBB58_20
.LBB58_19:                              ;   in Loop: Header=BB58_17 Depth=3
                                        ; implicit-def: $vgpr10_vgpr11
.LBB58_20:                              ;   in Loop: Header=BB58_17 Depth=3
	v_add_co_u32_e32 v10, vcc, v4, v8
	v_addc_co_u32_e32 v11, vcc, v5, v9, vcc
	s_branch .LBB58_16
.LBB58_21:                              ;   in Loop: Header=BB58_10 Depth=1
	s_nop 0
	v_mov_b32_dpp v3, v14 row_shr:1 row_mask:0xf bank_mask:0xf
	v_add_f32_e32 v3, v14, v3
	s_nop 1
	v_mov_b32_dpp v4, v3 row_shr:2 row_mask:0xf bank_mask:0xf
	v_add_f32_e32 v3, v3, v4
	;; [unrolled: 3-line block ×3, first 2 shown]
	s_nop 1
	v_mov_b32_dpp v4, v3 row_shr:8 row_mask:0xf bank_mask:0xc
	s_and_saveexec_b64 s[6:7], s[2:3]
	s_cbranch_execz .LBB58_9
; %bb.22:                               ;   in Loop: Header=BB58_10 Depth=1
	v_add_f32_e32 v3, v3, v4
	v_add_u32_e32 v4, s33, v2
	s_and_b64 vcc, exec, s[30:31]
	v_mul_f32_e32 v3, s18, v3
	v_ashrrev_i32_e32 v5, 31, v4
	s_cbranch_vccz .LBB58_24
; %bb.23:                               ;   in Loop: Header=BB58_10 Depth=1
	v_lshlrev_b64 v[6:7], 2, v[4:5]
	v_mov_b32_e32 v8, s9
	v_add_co_u32_e32 v6, vcc, s8, v6
	v_addc_co_u32_e32 v7, vcc, v8, v7, vcc
	global_store_dword v[6:7], v3, off
	s_cbranch_execnz .LBB58_9
	s_branch .LBB58_25
.LBB58_24:                              ;   in Loop: Header=BB58_10 Depth=1
.LBB58_25:                              ;   in Loop: Header=BB58_10 Depth=1
	v_lshlrev_b64 v[4:5], 2, v[4:5]
	v_mov_b32_e32 v6, s9
	v_add_co_u32_e32 v4, vcc, s8, v4
	v_addc_co_u32_e32 v5, vcc, v6, v5, vcc
	global_load_dword v6, v[4:5], off
	s_waitcnt vmcnt(0)
	v_fmac_f32_e32 v3, s20, v6
	global_store_dword v[4:5], v3, off
	s_branch .LBB58_9
.LBB58_26:
	s_endpgm
	.section	.rodata,"a",@progbits
	.p2align	6, 0x0
	.amdhsa_kernel _ZN9rocsparseL22bsrxmvn_general_kernelILj256ELj16EfliDF16_DF16_fEEv20rocsparse_direction_NS_24const_host_device_scalarIT1_EET3_PKS5_PKT2_SA_S7_PKT4_S5_PKT5_S4_PT6_21rocsparse_index_base_b
		.amdhsa_group_segment_fixed_size 0
		.amdhsa_private_segment_fixed_size 0
		.amdhsa_kernarg_size 104
		.amdhsa_user_sgpr_count 6
		.amdhsa_user_sgpr_private_segment_buffer 1
		.amdhsa_user_sgpr_dispatch_ptr 0
		.amdhsa_user_sgpr_queue_ptr 0
		.amdhsa_user_sgpr_kernarg_segment_ptr 1
		.amdhsa_user_sgpr_dispatch_id 0
		.amdhsa_user_sgpr_flat_scratch_init 0
		.amdhsa_user_sgpr_kernarg_preload_length 0
		.amdhsa_user_sgpr_kernarg_preload_offset 0
		.amdhsa_user_sgpr_private_segment_size 0
		.amdhsa_uses_dynamic_stack 0
		.amdhsa_system_sgpr_private_segment_wavefront_offset 0
		.amdhsa_system_sgpr_workgroup_id_x 1
		.amdhsa_system_sgpr_workgroup_id_y 0
		.amdhsa_system_sgpr_workgroup_id_z 0
		.amdhsa_system_sgpr_workgroup_info 0
		.amdhsa_system_vgpr_workitem_id 0
		.amdhsa_next_free_vgpr 18
		.amdhsa_next_free_sgpr 44
		.amdhsa_accum_offset 20
		.amdhsa_reserve_vcc 1
		.amdhsa_reserve_flat_scratch 0
		.amdhsa_float_round_mode_32 0
		.amdhsa_float_round_mode_16_64 0
		.amdhsa_float_denorm_mode_32 3
		.amdhsa_float_denorm_mode_16_64 3
		.amdhsa_dx10_clamp 1
		.amdhsa_ieee_mode 1
		.amdhsa_fp16_overflow 0
		.amdhsa_tg_split 0
		.amdhsa_exception_fp_ieee_invalid_op 0
		.amdhsa_exception_fp_denorm_src 0
		.amdhsa_exception_fp_ieee_div_zero 0
		.amdhsa_exception_fp_ieee_overflow 0
		.amdhsa_exception_fp_ieee_underflow 0
		.amdhsa_exception_fp_ieee_inexact 0
		.amdhsa_exception_int_div_zero 0
	.end_amdhsa_kernel
	.section	.text._ZN9rocsparseL22bsrxmvn_general_kernelILj256ELj16EfliDF16_DF16_fEEv20rocsparse_direction_NS_24const_host_device_scalarIT1_EET3_PKS5_PKT2_SA_S7_PKT4_S5_PKT5_S4_PT6_21rocsparse_index_base_b,"axG",@progbits,_ZN9rocsparseL22bsrxmvn_general_kernelILj256ELj16EfliDF16_DF16_fEEv20rocsparse_direction_NS_24const_host_device_scalarIT1_EET3_PKS5_PKT2_SA_S7_PKT4_S5_PKT5_S4_PT6_21rocsparse_index_base_b,comdat
.Lfunc_end58:
	.size	_ZN9rocsparseL22bsrxmvn_general_kernelILj256ELj16EfliDF16_DF16_fEEv20rocsparse_direction_NS_24const_host_device_scalarIT1_EET3_PKS5_PKT2_SA_S7_PKT4_S5_PKT5_S4_PT6_21rocsparse_index_base_b, .Lfunc_end58-_ZN9rocsparseL22bsrxmvn_general_kernelILj256ELj16EfliDF16_DF16_fEEv20rocsparse_direction_NS_24const_host_device_scalarIT1_EET3_PKS5_PKT2_SA_S7_PKT4_S5_PKT5_S4_PT6_21rocsparse_index_base_b
                                        ; -- End function
	.section	.AMDGPU.csdata,"",@progbits
; Kernel info:
; codeLenInByte = 964
; NumSgprs: 48
; NumVgprs: 18
; NumAgprs: 0
; TotalNumVgprs: 18
; ScratchSize: 0
; MemoryBound: 0
; FloatMode: 240
; IeeeMode: 1
; LDSByteSize: 0 bytes/workgroup (compile time only)
; SGPRBlocks: 5
; VGPRBlocks: 2
; NumSGPRsForWavesPerEU: 48
; NumVGPRsForWavesPerEU: 18
; AccumOffset: 20
; Occupancy: 8
; WaveLimiterHint : 1
; COMPUTE_PGM_RSRC2:SCRATCH_EN: 0
; COMPUTE_PGM_RSRC2:USER_SGPR: 6
; COMPUTE_PGM_RSRC2:TRAP_HANDLER: 0
; COMPUTE_PGM_RSRC2:TGID_X_EN: 1
; COMPUTE_PGM_RSRC2:TGID_Y_EN: 0
; COMPUTE_PGM_RSRC2:TGID_Z_EN: 0
; COMPUTE_PGM_RSRC2:TIDIG_COMP_CNT: 0
; COMPUTE_PGM_RSRC3_GFX90A:ACCUM_OFFSET: 4
; COMPUTE_PGM_RSRC3_GFX90A:TG_SPLIT: 0
	.section	.text._ZN9rocsparseL22bsrxmvn_general_kernelILj1024ELj32EfliDF16_DF16_fEEv20rocsparse_direction_NS_24const_host_device_scalarIT1_EET3_PKS5_PKT2_SA_S7_PKT4_S5_PKT5_S4_PT6_21rocsparse_index_base_b,"axG",@progbits,_ZN9rocsparseL22bsrxmvn_general_kernelILj1024ELj32EfliDF16_DF16_fEEv20rocsparse_direction_NS_24const_host_device_scalarIT1_EET3_PKS5_PKT2_SA_S7_PKT4_S5_PKT5_S4_PT6_21rocsparse_index_base_b,comdat
	.globl	_ZN9rocsparseL22bsrxmvn_general_kernelILj1024ELj32EfliDF16_DF16_fEEv20rocsparse_direction_NS_24const_host_device_scalarIT1_EET3_PKS5_PKT2_SA_S7_PKT4_S5_PKT5_S4_PT6_21rocsparse_index_base_b ; -- Begin function _ZN9rocsparseL22bsrxmvn_general_kernelILj1024ELj32EfliDF16_DF16_fEEv20rocsparse_direction_NS_24const_host_device_scalarIT1_EET3_PKS5_PKT2_SA_S7_PKT4_S5_PKT5_S4_PT6_21rocsparse_index_base_b
	.p2align	8
	.type	_ZN9rocsparseL22bsrxmvn_general_kernelILj1024ELj32EfliDF16_DF16_fEEv20rocsparse_direction_NS_24const_host_device_scalarIT1_EET3_PKS5_PKT2_SA_S7_PKT4_S5_PKT5_S4_PT6_21rocsparse_index_base_b,@function
_ZN9rocsparseL22bsrxmvn_general_kernelILj1024ELj32EfliDF16_DF16_fEEv20rocsparse_direction_NS_24const_host_device_scalarIT1_EET3_PKS5_PKT2_SA_S7_PKT4_S5_PKT5_S4_PT6_21rocsparse_index_base_b: ; @_ZN9rocsparseL22bsrxmvn_general_kernelILj1024ELj32EfliDF16_DF16_fEEv20rocsparse_direction_NS_24const_host_device_scalarIT1_EET3_PKS5_PKT2_SA_S7_PKT4_S5_PKT5_S4_PT6_21rocsparse_index_base_b
; %bb.0:
	s_load_dwordx2 s[16:17], s[4:5], 0x60
	s_load_dwordx2 s[18:19], s[4:5], 0x8
	;; [unrolled: 1-line block ×3, first 2 shown]
	s_waitcnt lgkmcnt(0)
	s_bitcmp1_b32 s17, 0
	s_cselect_b64 s[2:3], -1, 0
	s_xor_b64 s[0:1], s[2:3], -1
	s_and_b64 vcc, exec, s[2:3]
	s_cbranch_vccnz .LBB59_2
; %bb.1:
	s_load_dword s18, s[18:19], 0x0
.LBB59_2:
	s_andn2_b64 vcc, exec, s[0:1]
	s_cbranch_vccnz .LBB59_4
; %bb.3:
	s_load_dword s20, s[20:21], 0x0
.LBB59_4:
	s_waitcnt lgkmcnt(0)
	v_cmp_neq_f32_e64 s[0:1], s18, 0
	v_cmp_neq_f32_e64 s[2:3], s20, 1.0
	s_or_b64 s[0:1], s[0:1], s[2:3]
	s_andn2_b64 vcc, exec, s[0:1]
	s_cbranch_vccnz .LBB59_26
; %bb.5:
	s_load_dwordx2 s[0:1], s[4:5], 0x18
	s_waitcnt lgkmcnt(0)
	s_cmp_eq_u64 s[0:1], 0
	s_cbranch_scc1 .LBB59_7
; %bb.6:
	s_ashr_i32 s7, s6, 31
	s_lshl_b64 s[2:3], s[6:7], 2
	s_add_u32 s0, s0, s2
	s_addc_u32 s1, s1, s3
	s_load_dword s0, s[0:1], 0x0
	s_waitcnt lgkmcnt(0)
	s_sub_i32 s6, s0, s16
.LBB59_7:
	s_load_dword s17, s[4:5], 0x40
	v_lshrrev_b32_e32 v2, 5, v0
	s_waitcnt lgkmcnt(0)
	v_cmp_gt_i32_e32 vcc, s17, v2
	s_and_saveexec_b64 s[0:1], vcc
	s_cbranch_execz .LBB59_26
; %bb.8:
	s_load_dwordx8 s[8:15], s[4:5], 0x20
	s_ashr_i32 s7, s6, 31
	s_lshl_b64 s[0:1], s[6:7], 3
	s_mul_hi_u32 s19, s17, s17
	s_mul_i32 s21, s17, s17
	s_waitcnt lgkmcnt(0)
	s_add_u32 s2, s8, s0
	s_addc_u32 s3, s9, s1
	s_load_dwordx2 s[34:35], s[2:3], 0x0
	s_load_dwordx2 s[8:9], s[4:5], 0x58
	;; [unrolled: 1-line block ×3, first 2 shown]
	v_and_b32_e32 v0, 31, v0
	v_mov_b32_e32 v3, 0
	s_waitcnt lgkmcnt(0)
	s_sub_u32 s26, s34, s16
	s_subb_u32 s27, s35, 0
	s_add_u32 s2, s2, 8
	s_addc_u32 s3, s3, 0
	s_add_u32 s0, s10, s0
	s_addc_u32 s1, s11, s1
	s_cmp_eq_u64 s[10:11], 0
	s_cselect_b32 s1, s3, s1
	s_cselect_b32 s0, s2, s0
	s_load_dwordx2 s[2:3], s[0:1], 0x0
	s_load_dword s7, s[4:5], 0x0
	s_mul_i32 s4, s26, s19
	s_mul_hi_u32 s5, s26, s21
	s_mov_b64 s[24:25], 0
	s_waitcnt lgkmcnt(0)
	s_sub_u32 s10, s2, s16
	v_pk_mov_b32 v[4:5], s[2:3], s[2:3] op_sel:[0,1]
	s_subb_u32 s11, s3, 0
	s_cmp_lg_u32 s7, 0
	v_cmp_lt_i64_e32 vcc, s[34:35], v[4:5]
	s_cselect_b64 s[28:29], -1, 0
	s_add_i32 s4, s5, s4
	s_mul_i32 s5, s27, s21
	v_cndmask_b32_e64 v4, 0, 1, vcc
	v_cmp_gt_u32_e64 s[0:1], s17, v0
	v_cmp_eq_u32_e64 s[2:3], 31, v0
	v_cmp_eq_f32_e64 s[30:31], s20, 0
	s_mul_i32 s33, s6, s17
	s_add_i32 s40, s4, s5
	s_mul_i32 s41, s26, s21
	v_mul_lo_u32 v12, s17, v2
	s_lshl_b32 s42, s17, 5
	v_mov_b32_e32 v1, v3
	v_mul_lo_u32 v13, s17, v0
	v_cmp_ne_u32_e64 s[4:5], 1, v4
	s_branch .LBB59_10
.LBB59_9:                               ;   in Loop: Header=BB59_10 Depth=1
	s_or_b64 exec, exec, s[6:7]
	v_add_u32_e32 v2, 32, v2
	v_cmp_le_i32_e32 vcc, s17, v2
	s_or_b64 s[24:25], vcc, s[24:25]
	v_add_u32_e32 v12, s42, v12
	s_andn2_b64 exec, exec, s[24:25]
	s_cbranch_execz .LBB59_26
.LBB59_10:                              ; =>This Loop Header: Depth=1
                                        ;     Child Loop BB59_14 Depth 2
                                        ;       Child Loop BB59_17 Depth 3
	s_and_b64 vcc, exec, s[4:5]
	v_mov_b32_e32 v14, 0
	s_cbranch_vccnz .LBB59_21
; %bb.11:                               ;   in Loop: Header=BB59_10 Depth=1
	v_ashrrev_i32_e32 v5, 31, v12
	v_mov_b32_e32 v6, s40
	v_add_co_u32_e32 v4, vcc, s41, v12
	v_addc_co_u32_e32 v5, vcc, v6, v5, vcc
	v_mov_b32_e32 v14, 0
	s_mov_b64 s[6:7], s[26:27]
	s_branch .LBB59_14
.LBB59_12:                              ;   in Loop: Header=BB59_14 Depth=2
	s_or_b64 exec, exec, s[36:37]
.LBB59_13:                              ;   in Loop: Header=BB59_14 Depth=2
	s_or_b64 exec, exec, s[34:35]
	s_add_u32 s6, s6, 1
	v_mov_b32_e32 v6, s19
	v_add_co_u32_e32 v4, vcc, s21, v4
	s_addc_u32 s7, s7, 0
	v_addc_co_u32_e32 v5, vcc, v5, v6, vcc
	v_pk_mov_b32 v[6:7], s[10:11], s[10:11] op_sel:[0,1]
	v_cmp_ge_i64_e32 vcc, s[6:7], v[6:7]
	s_cbranch_vccnz .LBB59_21
.LBB59_14:                              ;   Parent Loop BB59_10 Depth=1
                                        ; =>  This Loop Header: Depth=2
                                        ;       Child Loop BB59_17 Depth 3
	s_and_saveexec_b64 s[34:35], s[0:1]
	s_cbranch_execz .LBB59_13
; %bb.15:                               ;   in Loop: Header=BB59_14 Depth=2
	s_lshl_b64 s[36:37], s[6:7], 2
	s_add_u32 s36, s12, s36
	s_addc_u32 s37, s13, s37
	s_load_dword s36, s[36:37], 0x0
	s_mul_i32 s37, s19, s6
	s_mul_i32 s38, s21, s7
	v_mov_b32_e32 v6, s6
	s_add_i32 s38, s38, s37
	s_waitcnt lgkmcnt(0)
	s_sub_i32 s39, s36, s16
	v_mad_u64_u32 v[6:7], s[36:37], s21, v6, v[2:3]
	v_add_u32_e32 v7, s38, v7
	s_mul_i32 s43, s39, s17
	s_mov_b64 s[36:37], 0
	v_mov_b32_e32 v15, v13
	v_pk_mov_b32 v[8:9], v[0:1], v[0:1] op_sel:[0,1]
	s_branch .LBB59_17
.LBB59_16:                              ;   in Loop: Header=BB59_17 Depth=3
	v_lshlrev_b64 v[10:11], 1, v[10:11]
	v_mov_b32_e32 v16, s15
	v_add_co_u32_e32 v10, vcc, s14, v10
	v_addc_co_u32_e32 v11, vcc, v16, v11, vcc
	global_load_ushort v16, v[10:11], off
	v_add_u32_e32 v10, s43, v8
	v_ashrrev_i32_e32 v11, 31, v10
	v_lshlrev_b64 v[10:11], 1, v[10:11]
	v_mov_b32_e32 v17, s23
	v_add_co_u32_e32 v10, vcc, s22, v10
	v_addc_co_u32_e32 v11, vcc, v17, v11, vcc
	global_load_ushort v10, v[10:11], off
	v_add_co_u32_e32 v8, vcc, 32, v8
	v_addc_co_u32_e32 v9, vcc, 0, v9, vcc
	v_cmp_le_i32_e32 vcc, s17, v8
	s_or_b64 s[36:37], vcc, s[36:37]
	v_add_u32_e32 v15, s42, v15
	s_waitcnt vmcnt(0)
	v_fma_mix_f32 v14, v16, v10, v14 op_sel_hi:[1,1,0]
	s_andn2_b64 exec, exec, s[36:37]
	s_cbranch_execz .LBB59_12
.LBB59_17:                              ;   Parent Loop BB59_10 Depth=1
                                        ;     Parent Loop BB59_14 Depth=2
                                        ; =>    This Inner Loop Header: Depth=3
	s_and_b64 vcc, exec, s[28:29]
	s_cbranch_vccz .LBB59_19
; %bb.18:                               ;   in Loop: Header=BB59_17 Depth=3
	v_ashrrev_i32_e32 v11, 31, v15
	v_add_co_u32_e32 v10, vcc, v6, v15
	v_addc_co_u32_e32 v11, vcc, v7, v11, vcc
	s_cbranch_execnz .LBB59_16
	s_branch .LBB59_20
.LBB59_19:                              ;   in Loop: Header=BB59_17 Depth=3
                                        ; implicit-def: $vgpr10_vgpr11
.LBB59_20:                              ;   in Loop: Header=BB59_17 Depth=3
	v_add_co_u32_e32 v10, vcc, v4, v8
	v_addc_co_u32_e32 v11, vcc, v5, v9, vcc
	s_branch .LBB59_16
.LBB59_21:                              ;   in Loop: Header=BB59_10 Depth=1
	s_nop 0
	v_mov_b32_dpp v4, v14 row_shr:1 row_mask:0xf bank_mask:0xf
	v_add_f32_e32 v4, v14, v4
	s_nop 1
	v_mov_b32_dpp v5, v4 row_shr:2 row_mask:0xf bank_mask:0xf
	v_add_f32_e32 v4, v4, v5
	;; [unrolled: 3-line block ×4, first 2 shown]
	s_nop 1
	v_mov_b32_dpp v5, v4 row_bcast:15 row_mask:0xa bank_mask:0xf
	s_and_saveexec_b64 s[6:7], s[2:3]
	s_cbranch_execz .LBB59_9
; %bb.22:                               ;   in Loop: Header=BB59_10 Depth=1
	v_add_f32_e32 v4, v4, v5
	v_mul_f32_e32 v6, s18, v4
	v_add_u32_e32 v4, s33, v2
	s_and_b64 vcc, exec, s[30:31]
	v_ashrrev_i32_e32 v5, 31, v4
	s_cbranch_vccz .LBB59_24
; %bb.23:                               ;   in Loop: Header=BB59_10 Depth=1
	v_lshlrev_b64 v[8:9], 2, v[4:5]
	v_mov_b32_e32 v7, s9
	v_add_co_u32_e32 v8, vcc, s8, v8
	v_addc_co_u32_e32 v9, vcc, v7, v9, vcc
	global_store_dword v[8:9], v6, off
	s_cbranch_execnz .LBB59_9
	s_branch .LBB59_25
.LBB59_24:                              ;   in Loop: Header=BB59_10 Depth=1
.LBB59_25:                              ;   in Loop: Header=BB59_10 Depth=1
	v_lshlrev_b64 v[4:5], 2, v[4:5]
	v_mov_b32_e32 v7, s9
	v_add_co_u32_e32 v4, vcc, s8, v4
	v_addc_co_u32_e32 v5, vcc, v7, v5, vcc
	global_load_dword v7, v[4:5], off
	s_waitcnt vmcnt(0)
	v_fmac_f32_e32 v6, s20, v7
	global_store_dword v[4:5], v6, off
	s_branch .LBB59_9
.LBB59_26:
	s_endpgm
	.section	.rodata,"a",@progbits
	.p2align	6, 0x0
	.amdhsa_kernel _ZN9rocsparseL22bsrxmvn_general_kernelILj1024ELj32EfliDF16_DF16_fEEv20rocsparse_direction_NS_24const_host_device_scalarIT1_EET3_PKS5_PKT2_SA_S7_PKT4_S5_PKT5_S4_PT6_21rocsparse_index_base_b
		.amdhsa_group_segment_fixed_size 0
		.amdhsa_private_segment_fixed_size 0
		.amdhsa_kernarg_size 104
		.amdhsa_user_sgpr_count 6
		.amdhsa_user_sgpr_private_segment_buffer 1
		.amdhsa_user_sgpr_dispatch_ptr 0
		.amdhsa_user_sgpr_queue_ptr 0
		.amdhsa_user_sgpr_kernarg_segment_ptr 1
		.amdhsa_user_sgpr_dispatch_id 0
		.amdhsa_user_sgpr_flat_scratch_init 0
		.amdhsa_user_sgpr_kernarg_preload_length 0
		.amdhsa_user_sgpr_kernarg_preload_offset 0
		.amdhsa_user_sgpr_private_segment_size 0
		.amdhsa_uses_dynamic_stack 0
		.amdhsa_system_sgpr_private_segment_wavefront_offset 0
		.amdhsa_system_sgpr_workgroup_id_x 1
		.amdhsa_system_sgpr_workgroup_id_y 0
		.amdhsa_system_sgpr_workgroup_id_z 0
		.amdhsa_system_sgpr_workgroup_info 0
		.amdhsa_system_vgpr_workitem_id 0
		.amdhsa_next_free_vgpr 18
		.amdhsa_next_free_sgpr 44
		.amdhsa_accum_offset 20
		.amdhsa_reserve_vcc 1
		.amdhsa_reserve_flat_scratch 0
		.amdhsa_float_round_mode_32 0
		.amdhsa_float_round_mode_16_64 0
		.amdhsa_float_denorm_mode_32 3
		.amdhsa_float_denorm_mode_16_64 3
		.amdhsa_dx10_clamp 1
		.amdhsa_ieee_mode 1
		.amdhsa_fp16_overflow 0
		.amdhsa_tg_split 0
		.amdhsa_exception_fp_ieee_invalid_op 0
		.amdhsa_exception_fp_denorm_src 0
		.amdhsa_exception_fp_ieee_div_zero 0
		.amdhsa_exception_fp_ieee_overflow 0
		.amdhsa_exception_fp_ieee_underflow 0
		.amdhsa_exception_fp_ieee_inexact 0
		.amdhsa_exception_int_div_zero 0
	.end_amdhsa_kernel
	.section	.text._ZN9rocsparseL22bsrxmvn_general_kernelILj1024ELj32EfliDF16_DF16_fEEv20rocsparse_direction_NS_24const_host_device_scalarIT1_EET3_PKS5_PKT2_SA_S7_PKT4_S5_PKT5_S4_PT6_21rocsparse_index_base_b,"axG",@progbits,_ZN9rocsparseL22bsrxmvn_general_kernelILj1024ELj32EfliDF16_DF16_fEEv20rocsparse_direction_NS_24const_host_device_scalarIT1_EET3_PKS5_PKT2_SA_S7_PKT4_S5_PKT5_S4_PT6_21rocsparse_index_base_b,comdat
.Lfunc_end59:
	.size	_ZN9rocsparseL22bsrxmvn_general_kernelILj1024ELj32EfliDF16_DF16_fEEv20rocsparse_direction_NS_24const_host_device_scalarIT1_EET3_PKS5_PKT2_SA_S7_PKT4_S5_PKT5_S4_PT6_21rocsparse_index_base_b, .Lfunc_end59-_ZN9rocsparseL22bsrxmvn_general_kernelILj1024ELj32EfliDF16_DF16_fEEv20rocsparse_direction_NS_24const_host_device_scalarIT1_EET3_PKS5_PKT2_SA_S7_PKT4_S5_PKT5_S4_PT6_21rocsparse_index_base_b
                                        ; -- End function
	.section	.AMDGPU.csdata,"",@progbits
; Kernel info:
; codeLenInByte = 980
; NumSgprs: 48
; NumVgprs: 18
; NumAgprs: 0
; TotalNumVgprs: 18
; ScratchSize: 0
; MemoryBound: 0
; FloatMode: 240
; IeeeMode: 1
; LDSByteSize: 0 bytes/workgroup (compile time only)
; SGPRBlocks: 5
; VGPRBlocks: 2
; NumSGPRsForWavesPerEU: 48
; NumVGPRsForWavesPerEU: 18
; AccumOffset: 20
; Occupancy: 8
; WaveLimiterHint : 1
; COMPUTE_PGM_RSRC2:SCRATCH_EN: 0
; COMPUTE_PGM_RSRC2:USER_SGPR: 6
; COMPUTE_PGM_RSRC2:TRAP_HANDLER: 0
; COMPUTE_PGM_RSRC2:TGID_X_EN: 1
; COMPUTE_PGM_RSRC2:TGID_Y_EN: 0
; COMPUTE_PGM_RSRC2:TGID_Z_EN: 0
; COMPUTE_PGM_RSRC2:TIDIG_COMP_CNT: 0
; COMPUTE_PGM_RSRC3_GFX90A:ACCUM_OFFSET: 4
; COMPUTE_PGM_RSRC3_GFX90A:TG_SPLIT: 0
	.section	.text._ZN9rocsparseL22bsrxmvn_general_kernelILj64ELj8EfllDF16_DF16_fEEv20rocsparse_direction_NS_24const_host_device_scalarIT1_EET3_PKS5_PKT2_SA_S7_PKT4_S5_PKT5_S4_PT6_21rocsparse_index_base_b,"axG",@progbits,_ZN9rocsparseL22bsrxmvn_general_kernelILj64ELj8EfllDF16_DF16_fEEv20rocsparse_direction_NS_24const_host_device_scalarIT1_EET3_PKS5_PKT2_SA_S7_PKT4_S5_PKT5_S4_PT6_21rocsparse_index_base_b,comdat
	.globl	_ZN9rocsparseL22bsrxmvn_general_kernelILj64ELj8EfllDF16_DF16_fEEv20rocsparse_direction_NS_24const_host_device_scalarIT1_EET3_PKS5_PKT2_SA_S7_PKT4_S5_PKT5_S4_PT6_21rocsparse_index_base_b ; -- Begin function _ZN9rocsparseL22bsrxmvn_general_kernelILj64ELj8EfllDF16_DF16_fEEv20rocsparse_direction_NS_24const_host_device_scalarIT1_EET3_PKS5_PKT2_SA_S7_PKT4_S5_PKT5_S4_PT6_21rocsparse_index_base_b
	.p2align	8
	.type	_ZN9rocsparseL22bsrxmvn_general_kernelILj64ELj8EfllDF16_DF16_fEEv20rocsparse_direction_NS_24const_host_device_scalarIT1_EET3_PKS5_PKT2_SA_S7_PKT4_S5_PKT5_S4_PT6_21rocsparse_index_base_b,@function
_ZN9rocsparseL22bsrxmvn_general_kernelILj64ELj8EfllDF16_DF16_fEEv20rocsparse_direction_NS_24const_host_device_scalarIT1_EET3_PKS5_PKT2_SA_S7_PKT4_S5_PKT5_S4_PT6_21rocsparse_index_base_b: ; @_ZN9rocsparseL22bsrxmvn_general_kernelILj64ELj8EfllDF16_DF16_fEEv20rocsparse_direction_NS_24const_host_device_scalarIT1_EET3_PKS5_PKT2_SA_S7_PKT4_S5_PKT5_S4_PT6_21rocsparse_index_base_b
; %bb.0:
	s_load_dwordx2 s[16:17], s[4:5], 0x60
	s_load_dwordx2 s[18:19], s[4:5], 0x8
	;; [unrolled: 1-line block ×3, first 2 shown]
	s_waitcnt lgkmcnt(0)
	s_bitcmp1_b32 s17, 0
	s_cselect_b64 s[2:3], -1, 0
	s_xor_b64 s[0:1], s[2:3], -1
	s_and_b64 vcc, exec, s[2:3]
	s_cbranch_vccnz .LBB60_2
; %bb.1:
	s_load_dword s18, s[18:19], 0x0
.LBB60_2:
	s_andn2_b64 vcc, exec, s[0:1]
	s_cbranch_vccnz .LBB60_4
; %bb.3:
	s_load_dword s20, s[20:21], 0x0
.LBB60_4:
	s_waitcnt lgkmcnt(0)
	v_cmp_neq_f32_e64 s[0:1], s18, 0
	v_cmp_neq_f32_e64 s[2:3], s20, 1.0
	s_or_b64 s[0:1], s[0:1], s[2:3]
	s_andn2_b64 vcc, exec, s[0:1]
	s_mov_b32 s7, 0
	s_cbranch_vccnz .LBB60_26
; %bb.5:
	s_load_dwordx2 s[0:1], s[4:5], 0x18
	s_waitcnt lgkmcnt(0)
	s_cmp_eq_u64 s[0:1], 0
	s_cbranch_scc1 .LBB60_7
; %bb.6:
	s_lshl_b64 s[2:3], s[6:7], 3
	s_add_u32 s0, s0, s2
	s_addc_u32 s1, s1, s3
	s_load_dwordx2 s[0:1], s[0:1], 0x0
	s_waitcnt lgkmcnt(0)
	s_sub_u32 s6, s0, s16
	s_subb_u32 s7, s1, 0
.LBB60_7:
	s_load_dwordx2 s[22:23], s[4:5], 0x40
	v_lshrrev_b32_e32 v2, 3, v0
	v_mov_b32_e32 v3, 0
	s_waitcnt lgkmcnt(0)
	v_cmp_gt_i64_e32 vcc, s[22:23], v[2:3]
	s_and_saveexec_b64 s[0:1], vcc
	s_cbranch_execz .LBB60_26
; %bb.8:
	s_load_dwordx8 s[8:15], s[4:5], 0x20
	s_lshl_b64 s[0:1], s[6:7], 3
	v_and_b32_e32 v0, 7, v0
	v_lshlrev_b32_e32 v4, 1, v0
	v_mov_b32_e32 v1, v3
	s_waitcnt lgkmcnt(0)
	s_add_u32 s2, s8, s0
	s_addc_u32 s3, s9, s1
	s_load_dwordx2 s[34:35], s[2:3], 0x0
	s_load_dwordx2 s[30:31], s[4:5], 0x58
	s_load_dwordx2 s[36:37], s[4:5], 0x48
	s_mov_b64 s[8:9], 0
	s_mul_i32 s33, s22, s22
	s_waitcnt lgkmcnt(0)
	s_sub_u32 s24, s34, s16
	s_subb_u32 s25, s35, 0
	s_add_u32 s2, s2, 8
	s_addc_u32 s3, s3, 0
	s_add_u32 s0, s10, s0
	s_addc_u32 s1, s11, s1
	s_cmp_eq_u64 s[10:11], 0
	s_cselect_b32 s1, s3, s1
	s_cselect_b32 s0, s2, s0
	s_load_dwordx2 s[28:29], s[0:1], 0x0
	s_load_dword s17, s[4:5], 0x0
	s_mul_i32 s4, s6, s23
	s_mul_hi_u32 s5, s6, s22
	v_mov_b32_e32 v6, s24
	s_waitcnt lgkmcnt(0)
	s_sub_u32 s26, s28, s16
	s_subb_u32 s27, s29, 0
	s_cmp_lg_u32 s17, 0
	v_pk_mov_b32 v[8:9], s[28:29], s[28:29] op_sel:[0,1]
	s_cselect_b64 s[28:29], -1, 0
	s_add_i32 s4, s5, s4
	s_mul_i32 s5, s7, s22
	s_add_i32 s5, s4, s5
	s_mul_i32 s4, s6, s22
	s_lshl_b64 s[4:5], s[4:5], 2
	s_add_u32 s17, s30, s4
	s_addc_u32 s19, s31, s5
	s_mul_i32 s4, s23, s24
	s_mul_i32 s5, s22, s25
	s_add_i32 s21, s5, s4
	v_mad_u64_u32 v[6:7], s[4:5], s22, v6, v[2:3]
	v_mov_b32_e32 v5, s37
	v_add_co_u32_e32 v4, vcc, s36, v4
	v_add_u32_e32 v7, s21, v7
	v_addc_co_u32_e32 v5, vcc, 0, v5, vcc
	v_mul_lo_u32 v10, s22, v7
	v_mul_lo_u32 v11, s23, v6
	v_mad_u64_u32 v[6:7], s[4:5], s22, v6, 0
	s_mul_i32 s4, s22, s23
	s_mul_hi_u32 s5, s22, s22
	v_cmp_lt_i64_e32 vcc, s[34:35], v[8:9]
	s_add_i32 s5, s5, s4
	v_cndmask_b32_e64 v8, 0, 1, vcc
	v_cmp_eq_f32_e64 s[10:11], s20, 0
	v_cmp_gt_u64_e64 s[0:1], s[22:23], v[0:1]
	v_cmp_eq_u32_e64 s[2:3], 7, v0
	s_lshl_b64 s[6:7], s[22:23], 1
	v_add3_u32 v7, v7, v10, v11
	s_lshl_b64 s[30:31], s[22:23], 3
	s_add_i32 s21, s5, s4
	v_cmp_ne_u32_e64 s[4:5], 1, v8
	s_branch .LBB60_10
.LBB60_9:                               ;   in Loop: Header=BB60_10 Depth=1
	s_or_b64 exec, exec, s[34:35]
	v_add_co_u32_e32 v2, vcc, 8, v2
	v_addc_co_u32_e32 v3, vcc, 0, v3, vcc
	v_cmp_le_i64_e32 vcc, s[22:23], v[2:3]
	v_mov_b32_e32 v8, s31
	s_or_b64 s[8:9], vcc, s[8:9]
	v_add_co_u32_e32 v6, vcc, s30, v6
	v_addc_co_u32_e32 v7, vcc, v7, v8, vcc
	s_andn2_b64 exec, exec, s[8:9]
	s_cbranch_execz .LBB60_26
.LBB60_10:                              ; =>This Loop Header: Depth=1
                                        ;     Child Loop BB60_14 Depth 2
                                        ;       Child Loop BB60_17 Depth 3
	s_and_b64 vcc, exec, s[4:5]
	v_mov_b32_e32 v16, 0
	s_cbranch_vccnz .LBB60_21
; %bb.11:                               ;   in Loop: Header=BB60_10 Depth=1
	v_mov_b32_e32 v16, 0
	v_pk_mov_b32 v[8:9], v[6:7], v[6:7] op_sel:[0,1]
	s_mov_b64 s[34:35], s[24:25]
	s_branch .LBB60_14
.LBB60_12:                              ;   in Loop: Header=BB60_14 Depth=2
	s_or_b64 exec, exec, s[38:39]
.LBB60_13:                              ;   in Loop: Header=BB60_14 Depth=2
	s_or_b64 exec, exec, s[36:37]
	s_add_u32 s34, s34, 1
	v_mov_b32_e32 v10, s21
	v_add_co_u32_e32 v8, vcc, s33, v8
	s_addc_u32 s35, s35, 0
	v_addc_co_u32_e32 v9, vcc, v9, v10, vcc
	v_pk_mov_b32 v[10:11], s[26:27], s[26:27] op_sel:[0,1]
	v_cmp_ge_i64_e32 vcc, s[34:35], v[10:11]
	s_cbranch_vccnz .LBB60_21
.LBB60_14:                              ;   Parent Loop BB60_10 Depth=1
                                        ; =>  This Loop Header: Depth=2
                                        ;       Child Loop BB60_17 Depth 3
	s_and_saveexec_b64 s[36:37], s[0:1]
	s_cbranch_execz .LBB60_13
; %bb.15:                               ;   in Loop: Header=BB60_14 Depth=2
	s_lshl_b64 s[38:39], s[34:35], 3
	s_add_u32 s38, s12, s38
	s_addc_u32 s39, s13, s39
	s_load_dwordx2 s[38:39], s[38:39], 0x0
	s_mul_i32 s40, s34, s23
	s_mul_hi_u32 s41, s34, s22
	s_mul_i32 s42, s35, s22
	s_mul_i32 s43, s34, s22
	s_waitcnt lgkmcnt(0)
	s_sub_u32 s38, s38, s16
	s_subb_u32 s39, s39, 0
	s_add_i32 s40, s41, s40
	s_add_i32 s42, s40, s42
	s_mul_i32 s40, s7, s38
	s_mul_i32 s39, s6, s39
	v_mov_b32_e32 v10, s38
	s_add_i32 s40, s39, s40
	v_mad_u64_u32 v[10:11], s[38:39], s6, v10, v[4:5]
	v_add_u32_e32 v11, s40, v11
	s_mov_b64 s[38:39], 0
	v_pk_mov_b32 v[12:13], v[0:1], v[0:1] op_sel:[0,1]
	s_branch .LBB60_17
.LBB60_16:                              ;   in Loop: Header=BB60_17 Depth=3
	v_lshlrev_b64 v[14:15], 1, v[14:15]
	v_mov_b32_e32 v17, s15
	v_add_co_u32_e32 v14, vcc, s14, v14
	v_addc_co_u32_e32 v15, vcc, v17, v15, vcc
	global_load_ushort v17, v[10:11], off
	global_load_ushort v18, v[14:15], off
	v_add_co_u32_e32 v12, vcc, 8, v12
	v_addc_co_u32_e32 v13, vcc, 0, v13, vcc
	v_cmp_le_i64_e32 vcc, s[22:23], v[12:13]
	s_or_b64 s[38:39], vcc, s[38:39]
	v_add_co_u32_e32 v10, vcc, 16, v10
	v_addc_co_u32_e32 v11, vcc, 0, v11, vcc
	s_waitcnt vmcnt(0)
	v_fma_mix_f32 v16, v18, v17, v16 op_sel_hi:[1,1,0]
	s_andn2_b64 exec, exec, s[38:39]
	s_cbranch_execz .LBB60_12
.LBB60_17:                              ;   Parent Loop BB60_10 Depth=1
                                        ;     Parent Loop BB60_14 Depth=2
                                        ; =>    This Inner Loop Header: Depth=3
	s_and_b64 vcc, exec, s[28:29]
	s_cbranch_vccz .LBB60_19
; %bb.18:                               ;   in Loop: Header=BB60_17 Depth=3
	v_mov_b32_e32 v14, s42
	v_add_co_u32_e32 v15, vcc, s43, v12
	v_addc_co_u32_e32 v14, vcc, v13, v14, vcc
	v_mul_lo_u32 v17, v15, s23
	v_mul_lo_u32 v18, v14, s22
	v_mad_u64_u32 v[14:15], s[40:41], v15, s22, v[2:3]
	v_add3_u32 v15, v18, v15, v17
	s_cbranch_execnz .LBB60_16
	s_branch .LBB60_20
.LBB60_19:                              ;   in Loop: Header=BB60_17 Depth=3
                                        ; implicit-def: $vgpr14_vgpr15
.LBB60_20:                              ;   in Loop: Header=BB60_17 Depth=3
	v_add_co_u32_e32 v14, vcc, v8, v12
	v_addc_co_u32_e32 v15, vcc, v9, v13, vcc
	s_branch .LBB60_16
.LBB60_21:                              ;   in Loop: Header=BB60_10 Depth=1
	s_nop 0
	v_mov_b32_dpp v8, v16 row_shr:1 row_mask:0xf bank_mask:0xf
	v_add_f32_e32 v8, v16, v8
	s_nop 1
	v_mov_b32_dpp v9, v8 row_shr:2 row_mask:0xf bank_mask:0xf
	v_add_f32_e32 v8, v8, v9
	s_nop 1
	v_mov_b32_dpp v9, v8 row_shr:4 row_mask:0xf bank_mask:0xe
	s_and_saveexec_b64 s[34:35], s[2:3]
	s_cbranch_execz .LBB60_9
; %bb.22:                               ;   in Loop: Header=BB60_10 Depth=1
	v_add_f32_e32 v8, v8, v9
	s_and_b64 vcc, exec, s[10:11]
	v_mul_f32_e32 v10, s18, v8
	v_lshlrev_b64 v[8:9], 2, v[2:3]
	s_cbranch_vccz .LBB60_24
; %bb.23:                               ;   in Loop: Header=BB60_10 Depth=1
	v_mov_b32_e32 v11, s19
	v_add_co_u32_e32 v12, vcc, s17, v8
	v_addc_co_u32_e32 v13, vcc, v11, v9, vcc
	global_store_dword v[12:13], v10, off
	s_cbranch_execnz .LBB60_9
	s_branch .LBB60_25
.LBB60_24:                              ;   in Loop: Header=BB60_10 Depth=1
.LBB60_25:                              ;   in Loop: Header=BB60_10 Depth=1
	v_mov_b32_e32 v11, s19
	v_add_co_u32_e32 v8, vcc, s17, v8
	v_addc_co_u32_e32 v9, vcc, v11, v9, vcc
	global_load_dword v11, v[8:9], off
	s_waitcnt vmcnt(0)
	v_fmac_f32_e32 v10, s20, v11
	global_store_dword v[8:9], v10, off
	s_branch .LBB60_9
.LBB60_26:
	s_endpgm
	.section	.rodata,"a",@progbits
	.p2align	6, 0x0
	.amdhsa_kernel _ZN9rocsparseL22bsrxmvn_general_kernelILj64ELj8EfllDF16_DF16_fEEv20rocsparse_direction_NS_24const_host_device_scalarIT1_EET3_PKS5_PKT2_SA_S7_PKT4_S5_PKT5_S4_PT6_21rocsparse_index_base_b
		.amdhsa_group_segment_fixed_size 0
		.amdhsa_private_segment_fixed_size 0
		.amdhsa_kernarg_size 104
		.amdhsa_user_sgpr_count 6
		.amdhsa_user_sgpr_private_segment_buffer 1
		.amdhsa_user_sgpr_dispatch_ptr 0
		.amdhsa_user_sgpr_queue_ptr 0
		.amdhsa_user_sgpr_kernarg_segment_ptr 1
		.amdhsa_user_sgpr_dispatch_id 0
		.amdhsa_user_sgpr_flat_scratch_init 0
		.amdhsa_user_sgpr_kernarg_preload_length 0
		.amdhsa_user_sgpr_kernarg_preload_offset 0
		.amdhsa_user_sgpr_private_segment_size 0
		.amdhsa_uses_dynamic_stack 0
		.amdhsa_system_sgpr_private_segment_wavefront_offset 0
		.amdhsa_system_sgpr_workgroup_id_x 1
		.amdhsa_system_sgpr_workgroup_id_y 0
		.amdhsa_system_sgpr_workgroup_id_z 0
		.amdhsa_system_sgpr_workgroup_info 0
		.amdhsa_system_vgpr_workitem_id 0
		.amdhsa_next_free_vgpr 19
		.amdhsa_next_free_sgpr 44
		.amdhsa_accum_offset 20
		.amdhsa_reserve_vcc 1
		.amdhsa_reserve_flat_scratch 0
		.amdhsa_float_round_mode_32 0
		.amdhsa_float_round_mode_16_64 0
		.amdhsa_float_denorm_mode_32 3
		.amdhsa_float_denorm_mode_16_64 3
		.amdhsa_dx10_clamp 1
		.amdhsa_ieee_mode 1
		.amdhsa_fp16_overflow 0
		.amdhsa_tg_split 0
		.amdhsa_exception_fp_ieee_invalid_op 0
		.amdhsa_exception_fp_denorm_src 0
		.amdhsa_exception_fp_ieee_div_zero 0
		.amdhsa_exception_fp_ieee_overflow 0
		.amdhsa_exception_fp_ieee_underflow 0
		.amdhsa_exception_fp_ieee_inexact 0
		.amdhsa_exception_int_div_zero 0
	.end_amdhsa_kernel
	.section	.text._ZN9rocsparseL22bsrxmvn_general_kernelILj64ELj8EfllDF16_DF16_fEEv20rocsparse_direction_NS_24const_host_device_scalarIT1_EET3_PKS5_PKT2_SA_S7_PKT4_S5_PKT5_S4_PT6_21rocsparse_index_base_b,"axG",@progbits,_ZN9rocsparseL22bsrxmvn_general_kernelILj64ELj8EfllDF16_DF16_fEEv20rocsparse_direction_NS_24const_host_device_scalarIT1_EET3_PKS5_PKT2_SA_S7_PKT4_S5_PKT5_S4_PT6_21rocsparse_index_base_b,comdat
.Lfunc_end60:
	.size	_ZN9rocsparseL22bsrxmvn_general_kernelILj64ELj8EfllDF16_DF16_fEEv20rocsparse_direction_NS_24const_host_device_scalarIT1_EET3_PKS5_PKT2_SA_S7_PKT4_S5_PKT5_S4_PT6_21rocsparse_index_base_b, .Lfunc_end60-_ZN9rocsparseL22bsrxmvn_general_kernelILj64ELj8EfllDF16_DF16_fEEv20rocsparse_direction_NS_24const_host_device_scalarIT1_EET3_PKS5_PKT2_SA_S7_PKT4_S5_PKT5_S4_PT6_21rocsparse_index_base_b
                                        ; -- End function
	.section	.AMDGPU.csdata,"",@progbits
; Kernel info:
; codeLenInByte = 1048
; NumSgprs: 48
; NumVgprs: 19
; NumAgprs: 0
; TotalNumVgprs: 19
; ScratchSize: 0
; MemoryBound: 0
; FloatMode: 240
; IeeeMode: 1
; LDSByteSize: 0 bytes/workgroup (compile time only)
; SGPRBlocks: 5
; VGPRBlocks: 2
; NumSGPRsForWavesPerEU: 48
; NumVGPRsForWavesPerEU: 19
; AccumOffset: 20
; Occupancy: 8
; WaveLimiterHint : 0
; COMPUTE_PGM_RSRC2:SCRATCH_EN: 0
; COMPUTE_PGM_RSRC2:USER_SGPR: 6
; COMPUTE_PGM_RSRC2:TRAP_HANDLER: 0
; COMPUTE_PGM_RSRC2:TGID_X_EN: 1
; COMPUTE_PGM_RSRC2:TGID_Y_EN: 0
; COMPUTE_PGM_RSRC2:TGID_Z_EN: 0
; COMPUTE_PGM_RSRC2:TIDIG_COMP_CNT: 0
; COMPUTE_PGM_RSRC3_GFX90A:ACCUM_OFFSET: 4
; COMPUTE_PGM_RSRC3_GFX90A:TG_SPLIT: 0
	.section	.text._ZN9rocsparseL22bsrxmvn_general_kernelILj256ELj16EfllDF16_DF16_fEEv20rocsparse_direction_NS_24const_host_device_scalarIT1_EET3_PKS5_PKT2_SA_S7_PKT4_S5_PKT5_S4_PT6_21rocsparse_index_base_b,"axG",@progbits,_ZN9rocsparseL22bsrxmvn_general_kernelILj256ELj16EfllDF16_DF16_fEEv20rocsparse_direction_NS_24const_host_device_scalarIT1_EET3_PKS5_PKT2_SA_S7_PKT4_S5_PKT5_S4_PT6_21rocsparse_index_base_b,comdat
	.globl	_ZN9rocsparseL22bsrxmvn_general_kernelILj256ELj16EfllDF16_DF16_fEEv20rocsparse_direction_NS_24const_host_device_scalarIT1_EET3_PKS5_PKT2_SA_S7_PKT4_S5_PKT5_S4_PT6_21rocsparse_index_base_b ; -- Begin function _ZN9rocsparseL22bsrxmvn_general_kernelILj256ELj16EfllDF16_DF16_fEEv20rocsparse_direction_NS_24const_host_device_scalarIT1_EET3_PKS5_PKT2_SA_S7_PKT4_S5_PKT5_S4_PT6_21rocsparse_index_base_b
	.p2align	8
	.type	_ZN9rocsparseL22bsrxmvn_general_kernelILj256ELj16EfllDF16_DF16_fEEv20rocsparse_direction_NS_24const_host_device_scalarIT1_EET3_PKS5_PKT2_SA_S7_PKT4_S5_PKT5_S4_PT6_21rocsparse_index_base_b,@function
_ZN9rocsparseL22bsrxmvn_general_kernelILj256ELj16EfllDF16_DF16_fEEv20rocsparse_direction_NS_24const_host_device_scalarIT1_EET3_PKS5_PKT2_SA_S7_PKT4_S5_PKT5_S4_PT6_21rocsparse_index_base_b: ; @_ZN9rocsparseL22bsrxmvn_general_kernelILj256ELj16EfllDF16_DF16_fEEv20rocsparse_direction_NS_24const_host_device_scalarIT1_EET3_PKS5_PKT2_SA_S7_PKT4_S5_PKT5_S4_PT6_21rocsparse_index_base_b
; %bb.0:
	s_load_dwordx2 s[16:17], s[4:5], 0x60
	s_load_dwordx2 s[18:19], s[4:5], 0x8
	;; [unrolled: 1-line block ×3, first 2 shown]
	s_waitcnt lgkmcnt(0)
	s_bitcmp1_b32 s17, 0
	s_cselect_b64 s[2:3], -1, 0
	s_xor_b64 s[0:1], s[2:3], -1
	s_and_b64 vcc, exec, s[2:3]
	s_cbranch_vccnz .LBB61_2
; %bb.1:
	s_load_dword s18, s[18:19], 0x0
.LBB61_2:
	s_andn2_b64 vcc, exec, s[0:1]
	s_cbranch_vccnz .LBB61_4
; %bb.3:
	s_load_dword s20, s[20:21], 0x0
.LBB61_4:
	s_waitcnt lgkmcnt(0)
	v_cmp_neq_f32_e64 s[0:1], s18, 0
	v_cmp_neq_f32_e64 s[2:3], s20, 1.0
	s_or_b64 s[0:1], s[0:1], s[2:3]
	s_andn2_b64 vcc, exec, s[0:1]
	s_mov_b32 s7, 0
	s_cbranch_vccnz .LBB61_26
; %bb.5:
	s_load_dwordx2 s[0:1], s[4:5], 0x18
	s_waitcnt lgkmcnt(0)
	s_cmp_eq_u64 s[0:1], 0
	s_cbranch_scc1 .LBB61_7
; %bb.6:
	s_lshl_b64 s[2:3], s[6:7], 3
	s_add_u32 s0, s0, s2
	s_addc_u32 s1, s1, s3
	s_load_dwordx2 s[0:1], s[0:1], 0x0
	s_waitcnt lgkmcnt(0)
	s_sub_u32 s6, s0, s16
	s_subb_u32 s7, s1, 0
.LBB61_7:
	s_load_dwordx2 s[22:23], s[4:5], 0x40
	v_lshrrev_b32_e32 v2, 4, v0
	v_mov_b32_e32 v3, 0
	s_waitcnt lgkmcnt(0)
	v_cmp_gt_i64_e32 vcc, s[22:23], v[2:3]
	s_and_saveexec_b64 s[0:1], vcc
	s_cbranch_execz .LBB61_26
; %bb.8:
	s_load_dwordx8 s[8:15], s[4:5], 0x20
	s_lshl_b64 s[0:1], s[6:7], 3
	v_and_b32_e32 v0, 15, v0
	v_lshlrev_b32_e32 v4, 1, v0
	v_mov_b32_e32 v1, v3
	s_waitcnt lgkmcnt(0)
	s_add_u32 s2, s8, s0
	s_addc_u32 s3, s9, s1
	s_load_dwordx2 s[34:35], s[2:3], 0x0
	s_load_dwordx2 s[30:31], s[4:5], 0x58
	;; [unrolled: 1-line block ×3, first 2 shown]
	s_mov_b64 s[8:9], 0
	s_mul_i32 s33, s22, s22
	s_waitcnt lgkmcnt(0)
	s_sub_u32 s24, s34, s16
	s_subb_u32 s25, s35, 0
	s_add_u32 s2, s2, 8
	s_addc_u32 s3, s3, 0
	s_add_u32 s0, s10, s0
	s_addc_u32 s1, s11, s1
	s_cmp_eq_u64 s[10:11], 0
	s_cselect_b32 s1, s3, s1
	s_cselect_b32 s0, s2, s0
	s_load_dwordx2 s[28:29], s[0:1], 0x0
	s_load_dword s17, s[4:5], 0x0
	s_mul_i32 s4, s6, s23
	s_mul_hi_u32 s5, s6, s22
	v_mov_b32_e32 v6, s24
	s_waitcnt lgkmcnt(0)
	s_sub_u32 s26, s28, s16
	s_subb_u32 s27, s29, 0
	s_cmp_lg_u32 s17, 0
	v_pk_mov_b32 v[8:9], s[28:29], s[28:29] op_sel:[0,1]
	s_cselect_b64 s[28:29], -1, 0
	s_add_i32 s4, s5, s4
	s_mul_i32 s5, s7, s22
	s_add_i32 s5, s4, s5
	s_mul_i32 s4, s6, s22
	s_lshl_b64 s[4:5], s[4:5], 2
	s_add_u32 s17, s30, s4
	s_addc_u32 s19, s31, s5
	s_mul_i32 s4, s23, s24
	s_mul_i32 s5, s22, s25
	s_add_i32 s21, s5, s4
	v_mad_u64_u32 v[6:7], s[4:5], s22, v6, v[2:3]
	v_mov_b32_e32 v5, s37
	v_add_co_u32_e32 v4, vcc, s36, v4
	v_add_u32_e32 v7, s21, v7
	v_addc_co_u32_e32 v5, vcc, 0, v5, vcc
	v_mul_lo_u32 v10, s22, v7
	v_mul_lo_u32 v11, s23, v6
	v_mad_u64_u32 v[6:7], s[4:5], s22, v6, 0
	s_mul_i32 s4, s22, s23
	s_mul_hi_u32 s5, s22, s22
	v_cmp_lt_i64_e32 vcc, s[34:35], v[8:9]
	s_add_i32 s5, s5, s4
	v_cndmask_b32_e64 v8, 0, 1, vcc
	v_cmp_eq_f32_e64 s[10:11], s20, 0
	v_cmp_gt_u64_e64 s[0:1], s[22:23], v[0:1]
	v_cmp_eq_u32_e64 s[2:3], 15, v0
	s_lshl_b64 s[6:7], s[22:23], 1
	v_add3_u32 v7, v7, v10, v11
	s_lshl_b64 s[30:31], s[22:23], 4
	s_add_i32 s21, s5, s4
	v_cmp_ne_u32_e64 s[4:5], 1, v8
	s_branch .LBB61_10
.LBB61_9:                               ;   in Loop: Header=BB61_10 Depth=1
	s_or_b64 exec, exec, s[34:35]
	v_add_co_u32_e32 v2, vcc, 16, v2
	v_addc_co_u32_e32 v3, vcc, 0, v3, vcc
	v_cmp_le_i64_e32 vcc, s[22:23], v[2:3]
	v_mov_b32_e32 v8, s31
	s_or_b64 s[8:9], vcc, s[8:9]
	v_add_co_u32_e32 v6, vcc, s30, v6
	v_addc_co_u32_e32 v7, vcc, v7, v8, vcc
	s_andn2_b64 exec, exec, s[8:9]
	s_cbranch_execz .LBB61_26
.LBB61_10:                              ; =>This Loop Header: Depth=1
                                        ;     Child Loop BB61_14 Depth 2
                                        ;       Child Loop BB61_17 Depth 3
	s_and_b64 vcc, exec, s[4:5]
	v_mov_b32_e32 v16, 0
	s_cbranch_vccnz .LBB61_21
; %bb.11:                               ;   in Loop: Header=BB61_10 Depth=1
	v_mov_b32_e32 v16, 0
	v_pk_mov_b32 v[8:9], v[6:7], v[6:7] op_sel:[0,1]
	s_mov_b64 s[34:35], s[24:25]
	s_branch .LBB61_14
.LBB61_12:                              ;   in Loop: Header=BB61_14 Depth=2
	s_or_b64 exec, exec, s[38:39]
.LBB61_13:                              ;   in Loop: Header=BB61_14 Depth=2
	s_or_b64 exec, exec, s[36:37]
	s_add_u32 s34, s34, 1
	v_mov_b32_e32 v10, s21
	v_add_co_u32_e32 v8, vcc, s33, v8
	s_addc_u32 s35, s35, 0
	v_addc_co_u32_e32 v9, vcc, v9, v10, vcc
	v_pk_mov_b32 v[10:11], s[26:27], s[26:27] op_sel:[0,1]
	v_cmp_ge_i64_e32 vcc, s[34:35], v[10:11]
	s_cbranch_vccnz .LBB61_21
.LBB61_14:                              ;   Parent Loop BB61_10 Depth=1
                                        ; =>  This Loop Header: Depth=2
                                        ;       Child Loop BB61_17 Depth 3
	s_and_saveexec_b64 s[36:37], s[0:1]
	s_cbranch_execz .LBB61_13
; %bb.15:                               ;   in Loop: Header=BB61_14 Depth=2
	s_lshl_b64 s[38:39], s[34:35], 3
	s_add_u32 s38, s12, s38
	s_addc_u32 s39, s13, s39
	s_load_dwordx2 s[38:39], s[38:39], 0x0
	s_mul_i32 s40, s34, s23
	s_mul_hi_u32 s41, s34, s22
	s_mul_i32 s42, s35, s22
	s_mul_i32 s43, s34, s22
	s_waitcnt lgkmcnt(0)
	s_sub_u32 s38, s38, s16
	s_subb_u32 s39, s39, 0
	s_add_i32 s40, s41, s40
	s_add_i32 s42, s40, s42
	s_mul_i32 s40, s7, s38
	s_mul_i32 s39, s6, s39
	v_mov_b32_e32 v10, s38
	s_add_i32 s40, s39, s40
	v_mad_u64_u32 v[10:11], s[38:39], s6, v10, v[4:5]
	v_add_u32_e32 v11, s40, v11
	s_mov_b64 s[38:39], 0
	v_pk_mov_b32 v[12:13], v[0:1], v[0:1] op_sel:[0,1]
	s_branch .LBB61_17
.LBB61_16:                              ;   in Loop: Header=BB61_17 Depth=3
	v_lshlrev_b64 v[14:15], 1, v[14:15]
	v_mov_b32_e32 v17, s15
	v_add_co_u32_e32 v14, vcc, s14, v14
	v_addc_co_u32_e32 v15, vcc, v17, v15, vcc
	global_load_ushort v17, v[10:11], off
	global_load_ushort v18, v[14:15], off
	v_add_co_u32_e32 v12, vcc, 16, v12
	v_addc_co_u32_e32 v13, vcc, 0, v13, vcc
	v_cmp_le_i64_e32 vcc, s[22:23], v[12:13]
	s_or_b64 s[38:39], vcc, s[38:39]
	v_add_co_u32_e32 v10, vcc, 32, v10
	v_addc_co_u32_e32 v11, vcc, 0, v11, vcc
	s_waitcnt vmcnt(0)
	v_fma_mix_f32 v16, v18, v17, v16 op_sel_hi:[1,1,0]
	s_andn2_b64 exec, exec, s[38:39]
	s_cbranch_execz .LBB61_12
.LBB61_17:                              ;   Parent Loop BB61_10 Depth=1
                                        ;     Parent Loop BB61_14 Depth=2
                                        ; =>    This Inner Loop Header: Depth=3
	s_and_b64 vcc, exec, s[28:29]
	s_cbranch_vccz .LBB61_19
; %bb.18:                               ;   in Loop: Header=BB61_17 Depth=3
	v_mov_b32_e32 v14, s42
	v_add_co_u32_e32 v15, vcc, s43, v12
	v_addc_co_u32_e32 v14, vcc, v13, v14, vcc
	v_mul_lo_u32 v17, v15, s23
	v_mul_lo_u32 v18, v14, s22
	v_mad_u64_u32 v[14:15], s[40:41], v15, s22, v[2:3]
	v_add3_u32 v15, v18, v15, v17
	s_cbranch_execnz .LBB61_16
	s_branch .LBB61_20
.LBB61_19:                              ;   in Loop: Header=BB61_17 Depth=3
                                        ; implicit-def: $vgpr14_vgpr15
.LBB61_20:                              ;   in Loop: Header=BB61_17 Depth=3
	v_add_co_u32_e32 v14, vcc, v8, v12
	v_addc_co_u32_e32 v15, vcc, v9, v13, vcc
	s_branch .LBB61_16
.LBB61_21:                              ;   in Loop: Header=BB61_10 Depth=1
	s_nop 0
	v_mov_b32_dpp v8, v16 row_shr:1 row_mask:0xf bank_mask:0xf
	v_add_f32_e32 v8, v16, v8
	s_nop 1
	v_mov_b32_dpp v9, v8 row_shr:2 row_mask:0xf bank_mask:0xf
	v_add_f32_e32 v8, v8, v9
	;; [unrolled: 3-line block ×3, first 2 shown]
	s_nop 1
	v_mov_b32_dpp v9, v8 row_shr:8 row_mask:0xf bank_mask:0xc
	s_and_saveexec_b64 s[34:35], s[2:3]
	s_cbranch_execz .LBB61_9
; %bb.22:                               ;   in Loop: Header=BB61_10 Depth=1
	v_add_f32_e32 v8, v8, v9
	s_and_b64 vcc, exec, s[10:11]
	v_mul_f32_e32 v10, s18, v8
	v_lshlrev_b64 v[8:9], 2, v[2:3]
	s_cbranch_vccz .LBB61_24
; %bb.23:                               ;   in Loop: Header=BB61_10 Depth=1
	v_mov_b32_e32 v11, s19
	v_add_co_u32_e32 v12, vcc, s17, v8
	v_addc_co_u32_e32 v13, vcc, v11, v9, vcc
	global_store_dword v[12:13], v10, off
	s_cbranch_execnz .LBB61_9
	s_branch .LBB61_25
.LBB61_24:                              ;   in Loop: Header=BB61_10 Depth=1
.LBB61_25:                              ;   in Loop: Header=BB61_10 Depth=1
	v_mov_b32_e32 v11, s19
	v_add_co_u32_e32 v8, vcc, s17, v8
	v_addc_co_u32_e32 v9, vcc, v11, v9, vcc
	global_load_dword v11, v[8:9], off
	s_waitcnt vmcnt(0)
	v_fmac_f32_e32 v10, s20, v11
	global_store_dword v[8:9], v10, off
	s_branch .LBB61_9
.LBB61_26:
	s_endpgm
	.section	.rodata,"a",@progbits
	.p2align	6, 0x0
	.amdhsa_kernel _ZN9rocsparseL22bsrxmvn_general_kernelILj256ELj16EfllDF16_DF16_fEEv20rocsparse_direction_NS_24const_host_device_scalarIT1_EET3_PKS5_PKT2_SA_S7_PKT4_S5_PKT5_S4_PT6_21rocsparse_index_base_b
		.amdhsa_group_segment_fixed_size 0
		.amdhsa_private_segment_fixed_size 0
		.amdhsa_kernarg_size 104
		.amdhsa_user_sgpr_count 6
		.amdhsa_user_sgpr_private_segment_buffer 1
		.amdhsa_user_sgpr_dispatch_ptr 0
		.amdhsa_user_sgpr_queue_ptr 0
		.amdhsa_user_sgpr_kernarg_segment_ptr 1
		.amdhsa_user_sgpr_dispatch_id 0
		.amdhsa_user_sgpr_flat_scratch_init 0
		.amdhsa_user_sgpr_kernarg_preload_length 0
		.amdhsa_user_sgpr_kernarg_preload_offset 0
		.amdhsa_user_sgpr_private_segment_size 0
		.amdhsa_uses_dynamic_stack 0
		.amdhsa_system_sgpr_private_segment_wavefront_offset 0
		.amdhsa_system_sgpr_workgroup_id_x 1
		.amdhsa_system_sgpr_workgroup_id_y 0
		.amdhsa_system_sgpr_workgroup_id_z 0
		.amdhsa_system_sgpr_workgroup_info 0
		.amdhsa_system_vgpr_workitem_id 0
		.amdhsa_next_free_vgpr 19
		.amdhsa_next_free_sgpr 44
		.amdhsa_accum_offset 20
		.amdhsa_reserve_vcc 1
		.amdhsa_reserve_flat_scratch 0
		.amdhsa_float_round_mode_32 0
		.amdhsa_float_round_mode_16_64 0
		.amdhsa_float_denorm_mode_32 3
		.amdhsa_float_denorm_mode_16_64 3
		.amdhsa_dx10_clamp 1
		.amdhsa_ieee_mode 1
		.amdhsa_fp16_overflow 0
		.amdhsa_tg_split 0
		.amdhsa_exception_fp_ieee_invalid_op 0
		.amdhsa_exception_fp_denorm_src 0
		.amdhsa_exception_fp_ieee_div_zero 0
		.amdhsa_exception_fp_ieee_overflow 0
		.amdhsa_exception_fp_ieee_underflow 0
		.amdhsa_exception_fp_ieee_inexact 0
		.amdhsa_exception_int_div_zero 0
	.end_amdhsa_kernel
	.section	.text._ZN9rocsparseL22bsrxmvn_general_kernelILj256ELj16EfllDF16_DF16_fEEv20rocsparse_direction_NS_24const_host_device_scalarIT1_EET3_PKS5_PKT2_SA_S7_PKT4_S5_PKT5_S4_PT6_21rocsparse_index_base_b,"axG",@progbits,_ZN9rocsparseL22bsrxmvn_general_kernelILj256ELj16EfllDF16_DF16_fEEv20rocsparse_direction_NS_24const_host_device_scalarIT1_EET3_PKS5_PKT2_SA_S7_PKT4_S5_PKT5_S4_PT6_21rocsparse_index_base_b,comdat
.Lfunc_end61:
	.size	_ZN9rocsparseL22bsrxmvn_general_kernelILj256ELj16EfllDF16_DF16_fEEv20rocsparse_direction_NS_24const_host_device_scalarIT1_EET3_PKS5_PKT2_SA_S7_PKT4_S5_PKT5_S4_PT6_21rocsparse_index_base_b, .Lfunc_end61-_ZN9rocsparseL22bsrxmvn_general_kernelILj256ELj16EfllDF16_DF16_fEEv20rocsparse_direction_NS_24const_host_device_scalarIT1_EET3_PKS5_PKT2_SA_S7_PKT4_S5_PKT5_S4_PT6_21rocsparse_index_base_b
                                        ; -- End function
	.section	.AMDGPU.csdata,"",@progbits
; Kernel info:
; codeLenInByte = 1064
; NumSgprs: 48
; NumVgprs: 19
; NumAgprs: 0
; TotalNumVgprs: 19
; ScratchSize: 0
; MemoryBound: 0
; FloatMode: 240
; IeeeMode: 1
; LDSByteSize: 0 bytes/workgroup (compile time only)
; SGPRBlocks: 5
; VGPRBlocks: 2
; NumSGPRsForWavesPerEU: 48
; NumVGPRsForWavesPerEU: 19
; AccumOffset: 20
; Occupancy: 8
; WaveLimiterHint : 0
; COMPUTE_PGM_RSRC2:SCRATCH_EN: 0
; COMPUTE_PGM_RSRC2:USER_SGPR: 6
; COMPUTE_PGM_RSRC2:TRAP_HANDLER: 0
; COMPUTE_PGM_RSRC2:TGID_X_EN: 1
; COMPUTE_PGM_RSRC2:TGID_Y_EN: 0
; COMPUTE_PGM_RSRC2:TGID_Z_EN: 0
; COMPUTE_PGM_RSRC2:TIDIG_COMP_CNT: 0
; COMPUTE_PGM_RSRC3_GFX90A:ACCUM_OFFSET: 4
; COMPUTE_PGM_RSRC3_GFX90A:TG_SPLIT: 0
	.section	.text._ZN9rocsparseL22bsrxmvn_general_kernelILj1024ELj32EfllDF16_DF16_fEEv20rocsparse_direction_NS_24const_host_device_scalarIT1_EET3_PKS5_PKT2_SA_S7_PKT4_S5_PKT5_S4_PT6_21rocsparse_index_base_b,"axG",@progbits,_ZN9rocsparseL22bsrxmvn_general_kernelILj1024ELj32EfllDF16_DF16_fEEv20rocsparse_direction_NS_24const_host_device_scalarIT1_EET3_PKS5_PKT2_SA_S7_PKT4_S5_PKT5_S4_PT6_21rocsparse_index_base_b,comdat
	.globl	_ZN9rocsparseL22bsrxmvn_general_kernelILj1024ELj32EfllDF16_DF16_fEEv20rocsparse_direction_NS_24const_host_device_scalarIT1_EET3_PKS5_PKT2_SA_S7_PKT4_S5_PKT5_S4_PT6_21rocsparse_index_base_b ; -- Begin function _ZN9rocsparseL22bsrxmvn_general_kernelILj1024ELj32EfllDF16_DF16_fEEv20rocsparse_direction_NS_24const_host_device_scalarIT1_EET3_PKS5_PKT2_SA_S7_PKT4_S5_PKT5_S4_PT6_21rocsparse_index_base_b
	.p2align	8
	.type	_ZN9rocsparseL22bsrxmvn_general_kernelILj1024ELj32EfllDF16_DF16_fEEv20rocsparse_direction_NS_24const_host_device_scalarIT1_EET3_PKS5_PKT2_SA_S7_PKT4_S5_PKT5_S4_PT6_21rocsparse_index_base_b,@function
_ZN9rocsparseL22bsrxmvn_general_kernelILj1024ELj32EfllDF16_DF16_fEEv20rocsparse_direction_NS_24const_host_device_scalarIT1_EET3_PKS5_PKT2_SA_S7_PKT4_S5_PKT5_S4_PT6_21rocsparse_index_base_b: ; @_ZN9rocsparseL22bsrxmvn_general_kernelILj1024ELj32EfllDF16_DF16_fEEv20rocsparse_direction_NS_24const_host_device_scalarIT1_EET3_PKS5_PKT2_SA_S7_PKT4_S5_PKT5_S4_PT6_21rocsparse_index_base_b
; %bb.0:
	s_load_dwordx2 s[16:17], s[4:5], 0x60
	s_load_dwordx2 s[18:19], s[4:5], 0x8
	;; [unrolled: 1-line block ×3, first 2 shown]
	s_waitcnt lgkmcnt(0)
	s_bitcmp1_b32 s17, 0
	s_cselect_b64 s[2:3], -1, 0
	s_xor_b64 s[0:1], s[2:3], -1
	s_and_b64 vcc, exec, s[2:3]
	s_cbranch_vccnz .LBB62_2
; %bb.1:
	s_load_dword s18, s[18:19], 0x0
.LBB62_2:
	s_andn2_b64 vcc, exec, s[0:1]
	s_cbranch_vccnz .LBB62_4
; %bb.3:
	s_load_dword s20, s[20:21], 0x0
.LBB62_4:
	s_waitcnt lgkmcnt(0)
	v_cmp_neq_f32_e64 s[0:1], s18, 0
	v_cmp_neq_f32_e64 s[2:3], s20, 1.0
	s_or_b64 s[0:1], s[0:1], s[2:3]
	s_andn2_b64 vcc, exec, s[0:1]
	s_mov_b32 s7, 0
	s_cbranch_vccnz .LBB62_26
; %bb.5:
	s_load_dwordx2 s[0:1], s[4:5], 0x18
	s_waitcnt lgkmcnt(0)
	s_cmp_eq_u64 s[0:1], 0
	s_cbranch_scc1 .LBB62_7
; %bb.6:
	s_lshl_b64 s[2:3], s[6:7], 3
	s_add_u32 s0, s0, s2
	s_addc_u32 s1, s1, s3
	s_load_dwordx2 s[0:1], s[0:1], 0x0
	s_waitcnt lgkmcnt(0)
	s_sub_u32 s6, s0, s16
	s_subb_u32 s7, s1, 0
.LBB62_7:
	s_load_dwordx2 s[22:23], s[4:5], 0x40
	v_lshrrev_b32_e32 v2, 5, v0
	v_mov_b32_e32 v3, 0
	s_waitcnt lgkmcnt(0)
	v_cmp_gt_i64_e32 vcc, s[22:23], v[2:3]
	s_and_saveexec_b64 s[0:1], vcc
	s_cbranch_execz .LBB62_26
; %bb.8:
	s_load_dwordx8 s[8:15], s[4:5], 0x20
	s_lshl_b64 s[0:1], s[6:7], 3
	v_and_b32_e32 v0, 31, v0
	v_lshlrev_b32_e32 v4, 1, v0
	v_mov_b32_e32 v1, v3
	s_waitcnt lgkmcnt(0)
	s_add_u32 s2, s8, s0
	s_addc_u32 s3, s9, s1
	s_load_dwordx2 s[34:35], s[2:3], 0x0
	s_load_dwordx2 s[30:31], s[4:5], 0x58
	;; [unrolled: 1-line block ×3, first 2 shown]
	s_mov_b64 s[8:9], 0
	s_mul_i32 s33, s22, s22
	s_waitcnt lgkmcnt(0)
	s_sub_u32 s24, s34, s16
	s_subb_u32 s25, s35, 0
	s_add_u32 s2, s2, 8
	s_addc_u32 s3, s3, 0
	s_add_u32 s0, s10, s0
	s_addc_u32 s1, s11, s1
	s_cmp_eq_u64 s[10:11], 0
	s_cselect_b32 s1, s3, s1
	s_cselect_b32 s0, s2, s0
	s_load_dwordx2 s[28:29], s[0:1], 0x0
	s_load_dword s17, s[4:5], 0x0
	s_mul_i32 s4, s6, s23
	s_mul_hi_u32 s5, s6, s22
	v_mov_b32_e32 v6, s24
	s_waitcnt lgkmcnt(0)
	s_sub_u32 s26, s28, s16
	s_subb_u32 s27, s29, 0
	s_cmp_lg_u32 s17, 0
	v_pk_mov_b32 v[8:9], s[28:29], s[28:29] op_sel:[0,1]
	s_cselect_b64 s[28:29], -1, 0
	s_add_i32 s4, s5, s4
	s_mul_i32 s5, s7, s22
	s_add_i32 s5, s4, s5
	s_mul_i32 s4, s6, s22
	s_lshl_b64 s[4:5], s[4:5], 2
	s_add_u32 s17, s30, s4
	s_addc_u32 s19, s31, s5
	s_mul_i32 s4, s23, s24
	s_mul_i32 s5, s22, s25
	s_add_i32 s21, s5, s4
	v_mad_u64_u32 v[6:7], s[4:5], s22, v6, v[2:3]
	v_mov_b32_e32 v5, s37
	v_add_co_u32_e32 v4, vcc, s36, v4
	v_add_u32_e32 v7, s21, v7
	v_addc_co_u32_e32 v5, vcc, 0, v5, vcc
	v_mul_lo_u32 v10, s22, v7
	v_mul_lo_u32 v11, s23, v6
	v_mad_u64_u32 v[6:7], s[4:5], s22, v6, 0
	s_mul_i32 s4, s22, s23
	s_mul_hi_u32 s5, s22, s22
	v_cmp_lt_i64_e32 vcc, s[34:35], v[8:9]
	s_add_i32 s5, s5, s4
	v_cndmask_b32_e64 v8, 0, 1, vcc
	v_cmp_eq_f32_e64 s[10:11], s20, 0
	v_cmp_gt_u64_e64 s[0:1], s[22:23], v[0:1]
	v_cmp_eq_u32_e64 s[2:3], 31, v0
	s_lshl_b64 s[6:7], s[22:23], 1
	v_add3_u32 v7, v7, v10, v11
	s_lshl_b64 s[30:31], s[22:23], 5
	s_add_i32 s21, s5, s4
	v_cmp_ne_u32_e64 s[4:5], 1, v8
	s_branch .LBB62_10
.LBB62_9:                               ;   in Loop: Header=BB62_10 Depth=1
	s_or_b64 exec, exec, s[34:35]
	v_add_co_u32_e32 v2, vcc, 32, v2
	v_addc_co_u32_e32 v3, vcc, 0, v3, vcc
	v_cmp_le_i64_e32 vcc, s[22:23], v[2:3]
	v_mov_b32_e32 v8, s31
	s_or_b64 s[8:9], vcc, s[8:9]
	v_add_co_u32_e32 v6, vcc, s30, v6
	v_addc_co_u32_e32 v7, vcc, v7, v8, vcc
	s_andn2_b64 exec, exec, s[8:9]
	s_cbranch_execz .LBB62_26
.LBB62_10:                              ; =>This Loop Header: Depth=1
                                        ;     Child Loop BB62_14 Depth 2
                                        ;       Child Loop BB62_17 Depth 3
	s_and_b64 vcc, exec, s[4:5]
	v_mov_b32_e32 v16, 0
	s_cbranch_vccnz .LBB62_21
; %bb.11:                               ;   in Loop: Header=BB62_10 Depth=1
	v_mov_b32_e32 v16, 0
	v_pk_mov_b32 v[8:9], v[6:7], v[6:7] op_sel:[0,1]
	s_mov_b64 s[34:35], s[24:25]
	s_branch .LBB62_14
.LBB62_12:                              ;   in Loop: Header=BB62_14 Depth=2
	s_or_b64 exec, exec, s[38:39]
.LBB62_13:                              ;   in Loop: Header=BB62_14 Depth=2
	s_or_b64 exec, exec, s[36:37]
	s_add_u32 s34, s34, 1
	v_mov_b32_e32 v10, s21
	v_add_co_u32_e32 v8, vcc, s33, v8
	s_addc_u32 s35, s35, 0
	v_addc_co_u32_e32 v9, vcc, v9, v10, vcc
	v_pk_mov_b32 v[10:11], s[26:27], s[26:27] op_sel:[0,1]
	v_cmp_ge_i64_e32 vcc, s[34:35], v[10:11]
	s_cbranch_vccnz .LBB62_21
.LBB62_14:                              ;   Parent Loop BB62_10 Depth=1
                                        ; =>  This Loop Header: Depth=2
                                        ;       Child Loop BB62_17 Depth 3
	s_and_saveexec_b64 s[36:37], s[0:1]
	s_cbranch_execz .LBB62_13
; %bb.15:                               ;   in Loop: Header=BB62_14 Depth=2
	s_lshl_b64 s[38:39], s[34:35], 3
	s_add_u32 s38, s12, s38
	s_addc_u32 s39, s13, s39
	s_load_dwordx2 s[38:39], s[38:39], 0x0
	s_mul_i32 s40, s34, s23
	s_mul_hi_u32 s41, s34, s22
	s_mul_i32 s42, s35, s22
	s_mul_i32 s43, s34, s22
	s_waitcnt lgkmcnt(0)
	s_sub_u32 s38, s38, s16
	s_subb_u32 s39, s39, 0
	s_add_i32 s40, s41, s40
	s_add_i32 s42, s40, s42
	s_mul_i32 s40, s7, s38
	s_mul_i32 s39, s6, s39
	v_mov_b32_e32 v10, s38
	s_add_i32 s40, s39, s40
	v_mad_u64_u32 v[10:11], s[38:39], s6, v10, v[4:5]
	v_add_u32_e32 v11, s40, v11
	s_mov_b64 s[38:39], 0
	v_pk_mov_b32 v[12:13], v[0:1], v[0:1] op_sel:[0,1]
	s_branch .LBB62_17
.LBB62_16:                              ;   in Loop: Header=BB62_17 Depth=3
	v_lshlrev_b64 v[14:15], 1, v[14:15]
	v_mov_b32_e32 v17, s15
	v_add_co_u32_e32 v14, vcc, s14, v14
	v_addc_co_u32_e32 v15, vcc, v17, v15, vcc
	global_load_ushort v17, v[10:11], off
	global_load_ushort v18, v[14:15], off
	v_add_co_u32_e32 v12, vcc, 32, v12
	v_addc_co_u32_e32 v13, vcc, 0, v13, vcc
	v_cmp_le_i64_e32 vcc, s[22:23], v[12:13]
	s_or_b64 s[38:39], vcc, s[38:39]
	v_add_co_u32_e32 v10, vcc, 64, v10
	v_addc_co_u32_e32 v11, vcc, 0, v11, vcc
	s_waitcnt vmcnt(0)
	v_fma_mix_f32 v16, v18, v17, v16 op_sel_hi:[1,1,0]
	s_andn2_b64 exec, exec, s[38:39]
	s_cbranch_execz .LBB62_12
.LBB62_17:                              ;   Parent Loop BB62_10 Depth=1
                                        ;     Parent Loop BB62_14 Depth=2
                                        ; =>    This Inner Loop Header: Depth=3
	s_and_b64 vcc, exec, s[28:29]
	s_cbranch_vccz .LBB62_19
; %bb.18:                               ;   in Loop: Header=BB62_17 Depth=3
	v_mov_b32_e32 v14, s42
	v_add_co_u32_e32 v15, vcc, s43, v12
	v_addc_co_u32_e32 v14, vcc, v13, v14, vcc
	v_mul_lo_u32 v17, v15, s23
	v_mul_lo_u32 v18, v14, s22
	v_mad_u64_u32 v[14:15], s[40:41], v15, s22, v[2:3]
	v_add3_u32 v15, v18, v15, v17
	s_cbranch_execnz .LBB62_16
	s_branch .LBB62_20
.LBB62_19:                              ;   in Loop: Header=BB62_17 Depth=3
                                        ; implicit-def: $vgpr14_vgpr15
.LBB62_20:                              ;   in Loop: Header=BB62_17 Depth=3
	v_add_co_u32_e32 v14, vcc, v8, v12
	v_addc_co_u32_e32 v15, vcc, v9, v13, vcc
	s_branch .LBB62_16
.LBB62_21:                              ;   in Loop: Header=BB62_10 Depth=1
	s_nop 0
	v_mov_b32_dpp v8, v16 row_shr:1 row_mask:0xf bank_mask:0xf
	v_add_f32_e32 v8, v16, v8
	s_nop 1
	v_mov_b32_dpp v9, v8 row_shr:2 row_mask:0xf bank_mask:0xf
	v_add_f32_e32 v8, v8, v9
	;; [unrolled: 3-line block ×4, first 2 shown]
	s_nop 1
	v_mov_b32_dpp v9, v8 row_bcast:15 row_mask:0xa bank_mask:0xf
	s_and_saveexec_b64 s[34:35], s[2:3]
	s_cbranch_execz .LBB62_9
; %bb.22:                               ;   in Loop: Header=BB62_10 Depth=1
	v_add_f32_e32 v8, v8, v9
	s_and_b64 vcc, exec, s[10:11]
	v_mul_f32_e32 v10, s18, v8
	v_lshlrev_b64 v[8:9], 2, v[2:3]
	s_cbranch_vccz .LBB62_24
; %bb.23:                               ;   in Loop: Header=BB62_10 Depth=1
	v_mov_b32_e32 v11, s19
	v_add_co_u32_e32 v12, vcc, s17, v8
	v_addc_co_u32_e32 v13, vcc, v11, v9, vcc
	global_store_dword v[12:13], v10, off
	s_cbranch_execnz .LBB62_9
	s_branch .LBB62_25
.LBB62_24:                              ;   in Loop: Header=BB62_10 Depth=1
.LBB62_25:                              ;   in Loop: Header=BB62_10 Depth=1
	v_mov_b32_e32 v11, s19
	v_add_co_u32_e32 v8, vcc, s17, v8
	v_addc_co_u32_e32 v9, vcc, v11, v9, vcc
	global_load_dword v11, v[8:9], off
	s_waitcnt vmcnt(0)
	v_fmac_f32_e32 v10, s20, v11
	global_store_dword v[8:9], v10, off
	s_branch .LBB62_9
.LBB62_26:
	s_endpgm
	.section	.rodata,"a",@progbits
	.p2align	6, 0x0
	.amdhsa_kernel _ZN9rocsparseL22bsrxmvn_general_kernelILj1024ELj32EfllDF16_DF16_fEEv20rocsparse_direction_NS_24const_host_device_scalarIT1_EET3_PKS5_PKT2_SA_S7_PKT4_S5_PKT5_S4_PT6_21rocsparse_index_base_b
		.amdhsa_group_segment_fixed_size 0
		.amdhsa_private_segment_fixed_size 0
		.amdhsa_kernarg_size 104
		.amdhsa_user_sgpr_count 6
		.amdhsa_user_sgpr_private_segment_buffer 1
		.amdhsa_user_sgpr_dispatch_ptr 0
		.amdhsa_user_sgpr_queue_ptr 0
		.amdhsa_user_sgpr_kernarg_segment_ptr 1
		.amdhsa_user_sgpr_dispatch_id 0
		.amdhsa_user_sgpr_flat_scratch_init 0
		.amdhsa_user_sgpr_kernarg_preload_length 0
		.amdhsa_user_sgpr_kernarg_preload_offset 0
		.amdhsa_user_sgpr_private_segment_size 0
		.amdhsa_uses_dynamic_stack 0
		.amdhsa_system_sgpr_private_segment_wavefront_offset 0
		.amdhsa_system_sgpr_workgroup_id_x 1
		.amdhsa_system_sgpr_workgroup_id_y 0
		.amdhsa_system_sgpr_workgroup_id_z 0
		.amdhsa_system_sgpr_workgroup_info 0
		.amdhsa_system_vgpr_workitem_id 0
		.amdhsa_next_free_vgpr 19
		.amdhsa_next_free_sgpr 44
		.amdhsa_accum_offset 20
		.amdhsa_reserve_vcc 1
		.amdhsa_reserve_flat_scratch 0
		.amdhsa_float_round_mode_32 0
		.amdhsa_float_round_mode_16_64 0
		.amdhsa_float_denorm_mode_32 3
		.amdhsa_float_denorm_mode_16_64 3
		.amdhsa_dx10_clamp 1
		.amdhsa_ieee_mode 1
		.amdhsa_fp16_overflow 0
		.amdhsa_tg_split 0
		.amdhsa_exception_fp_ieee_invalid_op 0
		.amdhsa_exception_fp_denorm_src 0
		.amdhsa_exception_fp_ieee_div_zero 0
		.amdhsa_exception_fp_ieee_overflow 0
		.amdhsa_exception_fp_ieee_underflow 0
		.amdhsa_exception_fp_ieee_inexact 0
		.amdhsa_exception_int_div_zero 0
	.end_amdhsa_kernel
	.section	.text._ZN9rocsparseL22bsrxmvn_general_kernelILj1024ELj32EfllDF16_DF16_fEEv20rocsparse_direction_NS_24const_host_device_scalarIT1_EET3_PKS5_PKT2_SA_S7_PKT4_S5_PKT5_S4_PT6_21rocsparse_index_base_b,"axG",@progbits,_ZN9rocsparseL22bsrxmvn_general_kernelILj1024ELj32EfllDF16_DF16_fEEv20rocsparse_direction_NS_24const_host_device_scalarIT1_EET3_PKS5_PKT2_SA_S7_PKT4_S5_PKT5_S4_PT6_21rocsparse_index_base_b,comdat
.Lfunc_end62:
	.size	_ZN9rocsparseL22bsrxmvn_general_kernelILj1024ELj32EfllDF16_DF16_fEEv20rocsparse_direction_NS_24const_host_device_scalarIT1_EET3_PKS5_PKT2_SA_S7_PKT4_S5_PKT5_S4_PT6_21rocsparse_index_base_b, .Lfunc_end62-_ZN9rocsparseL22bsrxmvn_general_kernelILj1024ELj32EfllDF16_DF16_fEEv20rocsparse_direction_NS_24const_host_device_scalarIT1_EET3_PKS5_PKT2_SA_S7_PKT4_S5_PKT5_S4_PT6_21rocsparse_index_base_b
                                        ; -- End function
	.section	.AMDGPU.csdata,"",@progbits
; Kernel info:
; codeLenInByte = 1080
; NumSgprs: 48
; NumVgprs: 19
; NumAgprs: 0
; TotalNumVgprs: 19
; ScratchSize: 0
; MemoryBound: 0
; FloatMode: 240
; IeeeMode: 1
; LDSByteSize: 0 bytes/workgroup (compile time only)
; SGPRBlocks: 5
; VGPRBlocks: 2
; NumSGPRsForWavesPerEU: 48
; NumVGPRsForWavesPerEU: 19
; AccumOffset: 20
; Occupancy: 8
; WaveLimiterHint : 0
; COMPUTE_PGM_RSRC2:SCRATCH_EN: 0
; COMPUTE_PGM_RSRC2:USER_SGPR: 6
; COMPUTE_PGM_RSRC2:TRAP_HANDLER: 0
; COMPUTE_PGM_RSRC2:TGID_X_EN: 1
; COMPUTE_PGM_RSRC2:TGID_Y_EN: 0
; COMPUTE_PGM_RSRC2:TGID_Z_EN: 0
; COMPUTE_PGM_RSRC2:TIDIG_COMP_CNT: 0
; COMPUTE_PGM_RSRC3_GFX90A:ACCUM_OFFSET: 4
; COMPUTE_PGM_RSRC3_GFX90A:TG_SPLIT: 0
	.section	.text._ZN9rocsparseL22bsrxmvn_general_kernelILj64ELj8Efii18rocsparse_bfloat16S1_fEEv20rocsparse_direction_NS_24const_host_device_scalarIT1_EET3_PKS6_PKT2_SB_S8_PKT4_S6_PKT5_S5_PT6_21rocsparse_index_base_b,"axG",@progbits,_ZN9rocsparseL22bsrxmvn_general_kernelILj64ELj8Efii18rocsparse_bfloat16S1_fEEv20rocsparse_direction_NS_24const_host_device_scalarIT1_EET3_PKS6_PKT2_SB_S8_PKT4_S6_PKT5_S5_PT6_21rocsparse_index_base_b,comdat
	.globl	_ZN9rocsparseL22bsrxmvn_general_kernelILj64ELj8Efii18rocsparse_bfloat16S1_fEEv20rocsparse_direction_NS_24const_host_device_scalarIT1_EET3_PKS6_PKT2_SB_S8_PKT4_S6_PKT5_S5_PT6_21rocsparse_index_base_b ; -- Begin function _ZN9rocsparseL22bsrxmvn_general_kernelILj64ELj8Efii18rocsparse_bfloat16S1_fEEv20rocsparse_direction_NS_24const_host_device_scalarIT1_EET3_PKS6_PKT2_SB_S8_PKT4_S6_PKT5_S5_PT6_21rocsparse_index_base_b
	.p2align	8
	.type	_ZN9rocsparseL22bsrxmvn_general_kernelILj64ELj8Efii18rocsparse_bfloat16S1_fEEv20rocsparse_direction_NS_24const_host_device_scalarIT1_EET3_PKS6_PKT2_SB_S8_PKT4_S6_PKT5_S5_PT6_21rocsparse_index_base_b,@function
_ZN9rocsparseL22bsrxmvn_general_kernelILj64ELj8Efii18rocsparse_bfloat16S1_fEEv20rocsparse_direction_NS_24const_host_device_scalarIT1_EET3_PKS6_PKT2_SB_S8_PKT4_S6_PKT5_S5_PT6_21rocsparse_index_base_b: ; @_ZN9rocsparseL22bsrxmvn_general_kernelILj64ELj8Efii18rocsparse_bfloat16S1_fEEv20rocsparse_direction_NS_24const_host_device_scalarIT1_EET3_PKS6_PKT2_SB_S8_PKT4_S6_PKT5_S5_PT6_21rocsparse_index_base_b
; %bb.0:
	s_load_dwordx2 s[16:17], s[4:5], 0x60
	s_load_dwordx2 s[18:19], s[4:5], 0x8
	;; [unrolled: 1-line block ×3, first 2 shown]
	s_waitcnt lgkmcnt(0)
	s_bitcmp1_b32 s17, 0
	s_cselect_b64 s[2:3], -1, 0
	s_xor_b64 s[0:1], s[2:3], -1
	s_and_b64 vcc, exec, s[2:3]
	s_cbranch_vccnz .LBB63_2
; %bb.1:
	s_load_dword s18, s[18:19], 0x0
.LBB63_2:
	s_andn2_b64 vcc, exec, s[0:1]
	s_cbranch_vccnz .LBB63_4
; %bb.3:
	s_load_dword s20, s[20:21], 0x0
.LBB63_4:
	s_waitcnt lgkmcnt(0)
	v_cmp_neq_f32_e64 s[0:1], s18, 0
	v_cmp_neq_f32_e64 s[2:3], s20, 1.0
	s_or_b64 s[0:1], s[0:1], s[2:3]
	s_andn2_b64 vcc, exec, s[0:1]
	s_cbranch_vccnz .LBB63_26
; %bb.5:
	s_load_dwordx2 s[0:1], s[4:5], 0x18
	s_waitcnt lgkmcnt(0)
	s_cmp_eq_u64 s[0:1], 0
	s_cbranch_scc1 .LBB63_7
; %bb.6:
	s_ashr_i32 s7, s6, 31
	s_lshl_b64 s[2:3], s[6:7], 2
	s_add_u32 s0, s0, s2
	s_addc_u32 s1, s1, s3
	s_load_dword s0, s[0:1], 0x0
	s_waitcnt lgkmcnt(0)
	s_sub_i32 s6, s0, s16
.LBB63_7:
	s_load_dword s17, s[4:5], 0x40
	v_lshrrev_b32_e32 v2, 3, v0
	s_waitcnt lgkmcnt(0)
	v_cmp_gt_i32_e32 vcc, s17, v2
	s_and_saveexec_b64 s[0:1], vcc
	s_cbranch_execz .LBB63_26
; %bb.8:
	s_load_dwordx8 s[8:15], s[4:5], 0x20
	s_ashr_i32 s7, s6, 31
	s_lshl_b64 s[0:1], s[6:7], 2
	s_mul_hi_u32 s21, s17, s17
	s_mul_i32 s33, s17, s17
	s_waitcnt lgkmcnt(0)
	s_add_u32 s2, s8, s0
	s_addc_u32 s3, s9, s1
	s_load_dword s7, s[2:3], 0x0
	s_load_dwordx2 s[8:9], s[4:5], 0x58
	s_load_dwordx2 s[22:23], s[4:5], 0x48
	s_mul_i32 s37, s6, s17
	v_and_b32_e32 v0, 7, v0
	s_waitcnt lgkmcnt(0)
	s_sub_i32 s19, s7, s16
	s_add_u32 s2, s2, 4
	s_addc_u32 s3, s3, 0
	s_add_u32 s0, s10, s0
	s_addc_u32 s1, s11, s1
	s_cmp_eq_u64 s[10:11], 0
	s_cselect_b32 s1, s3, s1
	s_cselect_b32 s0, s2, s0
	s_load_dword s2, s[0:1], 0x0
	s_load_dword s3, s[4:5], 0x0
	s_mul_hi_u32 s28, s19, s33
	s_mov_b64 s[24:25], 0
	v_cmp_gt_u32_e64 s[0:1], s17, v0
	s_waitcnt lgkmcnt(0)
	s_sub_i32 s36, s2, s16
	s_cmp_lt_i32 s7, s2
	s_cselect_b64 s[4:5], -1, 0
	s_cmp_lg_u32 s3, 0
	s_cselect_b64 s[10:11], -1, 0
	s_ashr_i32 s6, s19, 31
	s_mul_i32 s7, s19, s21
	s_add_i32 s7, s28, s7
	s_mul_i32 s6, s6, s33
	v_cndmask_b32_e64 v3, 0, 1, s[4:5]
	v_cmp_eq_u32_e64 s[2:3], 7, v0
	v_cmp_eq_f32_e64 s[26:27], s20, 0
	s_add_i32 s38, s7, s6
	s_mul_i32 s39, s19, s33
	v_mul_lo_u32 v12, s17, v2
	s_lshl_b32 s40, s17, 3
	v_mov_b32_e32 v1, 0
	v_mul_lo_u32 v13, s17, v0
	v_cmp_ne_u32_e64 s[4:5], 1, v3
	s_branch .LBB63_10
.LBB63_9:                               ;   in Loop: Header=BB63_10 Depth=1
	s_or_b64 exec, exec, s[6:7]
	v_add_u32_e32 v2, 8, v2
	v_cmp_le_i32_e32 vcc, s17, v2
	s_or_b64 s[24:25], vcc, s[24:25]
	v_add_u32_e32 v12, s40, v12
	s_andn2_b64 exec, exec, s[24:25]
	s_cbranch_execz .LBB63_26
.LBB63_10:                              ; =>This Loop Header: Depth=1
                                        ;     Child Loop BB63_14 Depth 2
                                        ;       Child Loop BB63_17 Depth 3
	s_and_b64 vcc, exec, s[4:5]
	v_mov_b32_e32 v14, 0
	s_cbranch_vccnz .LBB63_21
; %bb.11:                               ;   in Loop: Header=BB63_10 Depth=1
	v_ashrrev_i32_e32 v3, 31, v12
	v_mov_b32_e32 v5, s38
	v_add_co_u32_e32 v4, vcc, s39, v12
	v_addc_co_u32_e32 v5, vcc, v5, v3, vcc
	v_ashrrev_i32_e32 v3, 31, v2
	v_mov_b32_e32 v14, 0
	s_mov_b32 s6, s19
	s_branch .LBB63_14
.LBB63_12:                              ;   in Loop: Header=BB63_14 Depth=2
	s_or_b64 exec, exec, s[30:31]
.LBB63_13:                              ;   in Loop: Header=BB63_14 Depth=2
	s_or_b64 exec, exec, s[28:29]
	s_add_i32 s6, s6, 1
	v_mov_b32_e32 v6, s21
	v_add_co_u32_e32 v4, vcc, s33, v4
	s_cmp_ge_i32 s6, s36
	v_addc_co_u32_e32 v5, vcc, v5, v6, vcc
	s_cbranch_scc1 .LBB63_21
.LBB63_14:                              ;   Parent Loop BB63_10 Depth=1
                                        ; =>  This Loop Header: Depth=2
                                        ;       Child Loop BB63_17 Depth 3
	s_and_saveexec_b64 s[28:29], s[0:1]
	s_cbranch_execz .LBB63_13
; %bb.15:                               ;   in Loop: Header=BB63_14 Depth=2
	s_ashr_i32 s7, s6, 31
	s_lshl_b64 s[30:31], s[6:7], 2
	s_add_u32 s30, s12, s30
	s_addc_u32 s31, s13, s31
	s_load_dword s30, s[30:31], 0x0
	s_mul_i32 s31, s21, s6
	v_mov_b32_e32 v6, s6
	s_mul_i32 s7, s33, s7
	s_add_i32 s7, s7, s31
	s_waitcnt lgkmcnt(0)
	s_sub_i32 s34, s30, s16
	v_mad_u64_u32 v[6:7], s[30:31], s33, v6, v[2:3]
	v_add_u32_e32 v7, s7, v7
	s_mul_i32 s7, s34, s17
	s_mov_b64 s[30:31], 0
	v_mov_b32_e32 v15, v13
	v_pk_mov_b32 v[8:9], v[0:1], v[0:1] op_sel:[0,1]
	s_branch .LBB63_17
.LBB63_16:                              ;   in Loop: Header=BB63_17 Depth=3
	v_lshlrev_b64 v[10:11], 1, v[10:11]
	v_mov_b32_e32 v16, s15
	v_add_co_u32_e32 v10, vcc, s14, v10
	v_addc_co_u32_e32 v11, vcc, v16, v11, vcc
	global_load_ushort v16, v[10:11], off
	v_add_u32_e32 v10, s7, v8
	v_ashrrev_i32_e32 v11, 31, v10
	v_lshlrev_b64 v[10:11], 1, v[10:11]
	v_mov_b32_e32 v17, s23
	v_add_co_u32_e32 v10, vcc, s22, v10
	v_addc_co_u32_e32 v11, vcc, v17, v11, vcc
	global_load_ushort v10, v[10:11], off
	v_add_co_u32_e32 v8, vcc, 8, v8
	v_addc_co_u32_e32 v9, vcc, 0, v9, vcc
	v_cmp_le_i32_e32 vcc, s17, v8
	s_or_b64 s[30:31], vcc, s[30:31]
	v_add_u32_e32 v15, s40, v15
	s_waitcnt vmcnt(1)
	v_lshlrev_b32_e32 v11, 16, v16
	s_waitcnt vmcnt(0)
	v_lshlrev_b32_e32 v10, 16, v10
	v_fmac_f32_e32 v14, v11, v10
	s_andn2_b64 exec, exec, s[30:31]
	s_cbranch_execz .LBB63_12
.LBB63_17:                              ;   Parent Loop BB63_10 Depth=1
                                        ;     Parent Loop BB63_14 Depth=2
                                        ; =>    This Inner Loop Header: Depth=3
	s_and_b64 vcc, exec, s[10:11]
	s_cbranch_vccz .LBB63_19
; %bb.18:                               ;   in Loop: Header=BB63_17 Depth=3
	v_ashrrev_i32_e32 v11, 31, v15
	v_add_co_u32_e32 v10, vcc, v6, v15
	v_addc_co_u32_e32 v11, vcc, v7, v11, vcc
	s_cbranch_execnz .LBB63_16
	s_branch .LBB63_20
.LBB63_19:                              ;   in Loop: Header=BB63_17 Depth=3
                                        ; implicit-def: $vgpr10_vgpr11
.LBB63_20:                              ;   in Loop: Header=BB63_17 Depth=3
	v_add_co_u32_e32 v10, vcc, v4, v8
	v_addc_co_u32_e32 v11, vcc, v5, v9, vcc
	s_branch .LBB63_16
.LBB63_21:                              ;   in Loop: Header=BB63_10 Depth=1
	s_nop 0
	v_mov_b32_dpp v3, v14 row_shr:1 row_mask:0xf bank_mask:0xf
	v_add_f32_e32 v3, v14, v3
	s_nop 1
	v_mov_b32_dpp v4, v3 row_shr:2 row_mask:0xf bank_mask:0xf
	v_add_f32_e32 v3, v3, v4
	s_nop 1
	v_mov_b32_dpp v4, v3 row_shr:4 row_mask:0xf bank_mask:0xe
	s_and_saveexec_b64 s[6:7], s[2:3]
	s_cbranch_execz .LBB63_9
; %bb.22:                               ;   in Loop: Header=BB63_10 Depth=1
	v_add_f32_e32 v3, v3, v4
	v_add_u32_e32 v4, s37, v2
	s_and_b64 vcc, exec, s[26:27]
	v_mul_f32_e32 v3, s18, v3
	v_ashrrev_i32_e32 v5, 31, v4
	s_cbranch_vccz .LBB63_24
; %bb.23:                               ;   in Loop: Header=BB63_10 Depth=1
	v_lshlrev_b64 v[6:7], 2, v[4:5]
	v_mov_b32_e32 v8, s9
	v_add_co_u32_e32 v6, vcc, s8, v6
	v_addc_co_u32_e32 v7, vcc, v8, v7, vcc
	global_store_dword v[6:7], v3, off
	s_cbranch_execnz .LBB63_9
	s_branch .LBB63_25
.LBB63_24:                              ;   in Loop: Header=BB63_10 Depth=1
.LBB63_25:                              ;   in Loop: Header=BB63_10 Depth=1
	v_lshlrev_b64 v[4:5], 2, v[4:5]
	v_mov_b32_e32 v6, s9
	v_add_co_u32_e32 v4, vcc, s8, v4
	v_addc_co_u32_e32 v5, vcc, v6, v5, vcc
	global_load_dword v6, v[4:5], off
	s_waitcnt vmcnt(0)
	v_fmac_f32_e32 v3, s20, v6
	global_store_dword v[4:5], v3, off
	s_branch .LBB63_9
.LBB63_26:
	s_endpgm
	.section	.rodata,"a",@progbits
	.p2align	6, 0x0
	.amdhsa_kernel _ZN9rocsparseL22bsrxmvn_general_kernelILj64ELj8Efii18rocsparse_bfloat16S1_fEEv20rocsparse_direction_NS_24const_host_device_scalarIT1_EET3_PKS6_PKT2_SB_S8_PKT4_S6_PKT5_S5_PT6_21rocsparse_index_base_b
		.amdhsa_group_segment_fixed_size 0
		.amdhsa_private_segment_fixed_size 0
		.amdhsa_kernarg_size 104
		.amdhsa_user_sgpr_count 6
		.amdhsa_user_sgpr_private_segment_buffer 1
		.amdhsa_user_sgpr_dispatch_ptr 0
		.amdhsa_user_sgpr_queue_ptr 0
		.amdhsa_user_sgpr_kernarg_segment_ptr 1
		.amdhsa_user_sgpr_dispatch_id 0
		.amdhsa_user_sgpr_flat_scratch_init 0
		.amdhsa_user_sgpr_kernarg_preload_length 0
		.amdhsa_user_sgpr_kernarg_preload_offset 0
		.amdhsa_user_sgpr_private_segment_size 0
		.amdhsa_uses_dynamic_stack 0
		.amdhsa_system_sgpr_private_segment_wavefront_offset 0
		.amdhsa_system_sgpr_workgroup_id_x 1
		.amdhsa_system_sgpr_workgroup_id_y 0
		.amdhsa_system_sgpr_workgroup_id_z 0
		.amdhsa_system_sgpr_workgroup_info 0
		.amdhsa_system_vgpr_workitem_id 0
		.amdhsa_next_free_vgpr 18
		.amdhsa_next_free_sgpr 41
		.amdhsa_accum_offset 20
		.amdhsa_reserve_vcc 1
		.amdhsa_reserve_flat_scratch 0
		.amdhsa_float_round_mode_32 0
		.amdhsa_float_round_mode_16_64 0
		.amdhsa_float_denorm_mode_32 3
		.amdhsa_float_denorm_mode_16_64 3
		.amdhsa_dx10_clamp 1
		.amdhsa_ieee_mode 1
		.amdhsa_fp16_overflow 0
		.amdhsa_tg_split 0
		.amdhsa_exception_fp_ieee_invalid_op 0
		.amdhsa_exception_fp_denorm_src 0
		.amdhsa_exception_fp_ieee_div_zero 0
		.amdhsa_exception_fp_ieee_overflow 0
		.amdhsa_exception_fp_ieee_underflow 0
		.amdhsa_exception_fp_ieee_inexact 0
		.amdhsa_exception_int_div_zero 0
	.end_amdhsa_kernel
	.section	.text._ZN9rocsparseL22bsrxmvn_general_kernelILj64ELj8Efii18rocsparse_bfloat16S1_fEEv20rocsparse_direction_NS_24const_host_device_scalarIT1_EET3_PKS6_PKT2_SB_S8_PKT4_S6_PKT5_S5_PT6_21rocsparse_index_base_b,"axG",@progbits,_ZN9rocsparseL22bsrxmvn_general_kernelILj64ELj8Efii18rocsparse_bfloat16S1_fEEv20rocsparse_direction_NS_24const_host_device_scalarIT1_EET3_PKS6_PKT2_SB_S8_PKT4_S6_PKT5_S5_PT6_21rocsparse_index_base_b,comdat
.Lfunc_end63:
	.size	_ZN9rocsparseL22bsrxmvn_general_kernelILj64ELj8Efii18rocsparse_bfloat16S1_fEEv20rocsparse_direction_NS_24const_host_device_scalarIT1_EET3_PKS6_PKT2_SB_S8_PKT4_S6_PKT5_S5_PT6_21rocsparse_index_base_b, .Lfunc_end63-_ZN9rocsparseL22bsrxmvn_general_kernelILj64ELj8Efii18rocsparse_bfloat16S1_fEEv20rocsparse_direction_NS_24const_host_device_scalarIT1_EET3_PKS6_PKT2_SB_S8_PKT4_S6_PKT5_S5_PT6_21rocsparse_index_base_b
                                        ; -- End function
	.section	.AMDGPU.csdata,"",@progbits
; Kernel info:
; codeLenInByte = 940
; NumSgprs: 45
; NumVgprs: 18
; NumAgprs: 0
; TotalNumVgprs: 18
; ScratchSize: 0
; MemoryBound: 0
; FloatMode: 240
; IeeeMode: 1
; LDSByteSize: 0 bytes/workgroup (compile time only)
; SGPRBlocks: 5
; VGPRBlocks: 2
; NumSGPRsForWavesPerEU: 45
; NumVGPRsForWavesPerEU: 18
; AccumOffset: 20
; Occupancy: 8
; WaveLimiterHint : 1
; COMPUTE_PGM_RSRC2:SCRATCH_EN: 0
; COMPUTE_PGM_RSRC2:USER_SGPR: 6
; COMPUTE_PGM_RSRC2:TRAP_HANDLER: 0
; COMPUTE_PGM_RSRC2:TGID_X_EN: 1
; COMPUTE_PGM_RSRC2:TGID_Y_EN: 0
; COMPUTE_PGM_RSRC2:TGID_Z_EN: 0
; COMPUTE_PGM_RSRC2:TIDIG_COMP_CNT: 0
; COMPUTE_PGM_RSRC3_GFX90A:ACCUM_OFFSET: 4
; COMPUTE_PGM_RSRC3_GFX90A:TG_SPLIT: 0
	.section	.text._ZN9rocsparseL22bsrxmvn_general_kernelILj256ELj16Efii18rocsparse_bfloat16S1_fEEv20rocsparse_direction_NS_24const_host_device_scalarIT1_EET3_PKS6_PKT2_SB_S8_PKT4_S6_PKT5_S5_PT6_21rocsparse_index_base_b,"axG",@progbits,_ZN9rocsparseL22bsrxmvn_general_kernelILj256ELj16Efii18rocsparse_bfloat16S1_fEEv20rocsparse_direction_NS_24const_host_device_scalarIT1_EET3_PKS6_PKT2_SB_S8_PKT4_S6_PKT5_S5_PT6_21rocsparse_index_base_b,comdat
	.globl	_ZN9rocsparseL22bsrxmvn_general_kernelILj256ELj16Efii18rocsparse_bfloat16S1_fEEv20rocsparse_direction_NS_24const_host_device_scalarIT1_EET3_PKS6_PKT2_SB_S8_PKT4_S6_PKT5_S5_PT6_21rocsparse_index_base_b ; -- Begin function _ZN9rocsparseL22bsrxmvn_general_kernelILj256ELj16Efii18rocsparse_bfloat16S1_fEEv20rocsparse_direction_NS_24const_host_device_scalarIT1_EET3_PKS6_PKT2_SB_S8_PKT4_S6_PKT5_S5_PT6_21rocsparse_index_base_b
	.p2align	8
	.type	_ZN9rocsparseL22bsrxmvn_general_kernelILj256ELj16Efii18rocsparse_bfloat16S1_fEEv20rocsparse_direction_NS_24const_host_device_scalarIT1_EET3_PKS6_PKT2_SB_S8_PKT4_S6_PKT5_S5_PT6_21rocsparse_index_base_b,@function
_ZN9rocsparseL22bsrxmvn_general_kernelILj256ELj16Efii18rocsparse_bfloat16S1_fEEv20rocsparse_direction_NS_24const_host_device_scalarIT1_EET3_PKS6_PKT2_SB_S8_PKT4_S6_PKT5_S5_PT6_21rocsparse_index_base_b: ; @_ZN9rocsparseL22bsrxmvn_general_kernelILj256ELj16Efii18rocsparse_bfloat16S1_fEEv20rocsparse_direction_NS_24const_host_device_scalarIT1_EET3_PKS6_PKT2_SB_S8_PKT4_S6_PKT5_S5_PT6_21rocsparse_index_base_b
; %bb.0:
	s_load_dwordx2 s[16:17], s[4:5], 0x60
	s_load_dwordx2 s[18:19], s[4:5], 0x8
	s_load_dwordx2 s[20:21], s[4:5], 0x50
	s_waitcnt lgkmcnt(0)
	s_bitcmp1_b32 s17, 0
	s_cselect_b64 s[2:3], -1, 0
	s_xor_b64 s[0:1], s[2:3], -1
	s_and_b64 vcc, exec, s[2:3]
	s_cbranch_vccnz .LBB64_2
; %bb.1:
	s_load_dword s18, s[18:19], 0x0
.LBB64_2:
	s_andn2_b64 vcc, exec, s[0:1]
	s_cbranch_vccnz .LBB64_4
; %bb.3:
	s_load_dword s20, s[20:21], 0x0
.LBB64_4:
	s_waitcnt lgkmcnt(0)
	v_cmp_neq_f32_e64 s[0:1], s18, 0
	v_cmp_neq_f32_e64 s[2:3], s20, 1.0
	s_or_b64 s[0:1], s[0:1], s[2:3]
	s_andn2_b64 vcc, exec, s[0:1]
	s_cbranch_vccnz .LBB64_26
; %bb.5:
	s_load_dwordx2 s[0:1], s[4:5], 0x18
	s_waitcnt lgkmcnt(0)
	s_cmp_eq_u64 s[0:1], 0
	s_cbranch_scc1 .LBB64_7
; %bb.6:
	s_ashr_i32 s7, s6, 31
	s_lshl_b64 s[2:3], s[6:7], 2
	s_add_u32 s0, s0, s2
	s_addc_u32 s1, s1, s3
	s_load_dword s0, s[0:1], 0x0
	s_waitcnt lgkmcnt(0)
	s_sub_i32 s6, s0, s16
.LBB64_7:
	s_load_dword s17, s[4:5], 0x40
	v_lshrrev_b32_e32 v2, 4, v0
	s_waitcnt lgkmcnt(0)
	v_cmp_gt_i32_e32 vcc, s17, v2
	s_and_saveexec_b64 s[0:1], vcc
	s_cbranch_execz .LBB64_26
; %bb.8:
	s_load_dwordx8 s[8:15], s[4:5], 0x20
	s_ashr_i32 s7, s6, 31
	s_lshl_b64 s[0:1], s[6:7], 2
	s_mul_hi_u32 s21, s17, s17
	s_mul_i32 s33, s17, s17
	s_waitcnt lgkmcnt(0)
	s_add_u32 s2, s8, s0
	s_addc_u32 s3, s9, s1
	s_load_dword s7, s[2:3], 0x0
	s_load_dwordx2 s[8:9], s[4:5], 0x58
	s_load_dwordx2 s[22:23], s[4:5], 0x48
	s_mul_i32 s37, s6, s17
	v_and_b32_e32 v0, 15, v0
	s_waitcnt lgkmcnt(0)
	s_sub_i32 s19, s7, s16
	s_add_u32 s2, s2, 4
	s_addc_u32 s3, s3, 0
	s_add_u32 s0, s10, s0
	s_addc_u32 s1, s11, s1
	s_cmp_eq_u64 s[10:11], 0
	s_cselect_b32 s1, s3, s1
	s_cselect_b32 s0, s2, s0
	s_load_dword s2, s[0:1], 0x0
	s_load_dword s3, s[4:5], 0x0
	s_mul_hi_u32 s28, s19, s33
	s_mov_b64 s[24:25], 0
	v_cmp_gt_u32_e64 s[0:1], s17, v0
	s_waitcnt lgkmcnt(0)
	s_sub_i32 s36, s2, s16
	s_cmp_lt_i32 s7, s2
	s_cselect_b64 s[4:5], -1, 0
	s_cmp_lg_u32 s3, 0
	s_cselect_b64 s[10:11], -1, 0
	s_ashr_i32 s6, s19, 31
	s_mul_i32 s7, s19, s21
	s_add_i32 s7, s28, s7
	s_mul_i32 s6, s6, s33
	v_cndmask_b32_e64 v3, 0, 1, s[4:5]
	v_cmp_eq_u32_e64 s[2:3], 15, v0
	v_cmp_eq_f32_e64 s[26:27], s20, 0
	s_add_i32 s38, s7, s6
	s_mul_i32 s39, s19, s33
	v_mul_lo_u32 v12, s17, v2
	s_lshl_b32 s40, s17, 4
	v_mov_b32_e32 v1, 0
	v_mul_lo_u32 v13, s17, v0
	v_cmp_ne_u32_e64 s[4:5], 1, v3
	s_branch .LBB64_10
.LBB64_9:                               ;   in Loop: Header=BB64_10 Depth=1
	s_or_b64 exec, exec, s[6:7]
	v_add_u32_e32 v2, 16, v2
	v_cmp_le_i32_e32 vcc, s17, v2
	s_or_b64 s[24:25], vcc, s[24:25]
	v_add_u32_e32 v12, s40, v12
	s_andn2_b64 exec, exec, s[24:25]
	s_cbranch_execz .LBB64_26
.LBB64_10:                              ; =>This Loop Header: Depth=1
                                        ;     Child Loop BB64_14 Depth 2
                                        ;       Child Loop BB64_17 Depth 3
	s_and_b64 vcc, exec, s[4:5]
	v_mov_b32_e32 v14, 0
	s_cbranch_vccnz .LBB64_21
; %bb.11:                               ;   in Loop: Header=BB64_10 Depth=1
	v_ashrrev_i32_e32 v3, 31, v12
	v_mov_b32_e32 v5, s38
	v_add_co_u32_e32 v4, vcc, s39, v12
	v_addc_co_u32_e32 v5, vcc, v5, v3, vcc
	v_ashrrev_i32_e32 v3, 31, v2
	v_mov_b32_e32 v14, 0
	s_mov_b32 s6, s19
	s_branch .LBB64_14
.LBB64_12:                              ;   in Loop: Header=BB64_14 Depth=2
	s_or_b64 exec, exec, s[30:31]
.LBB64_13:                              ;   in Loop: Header=BB64_14 Depth=2
	s_or_b64 exec, exec, s[28:29]
	s_add_i32 s6, s6, 1
	v_mov_b32_e32 v6, s21
	v_add_co_u32_e32 v4, vcc, s33, v4
	s_cmp_ge_i32 s6, s36
	v_addc_co_u32_e32 v5, vcc, v5, v6, vcc
	s_cbranch_scc1 .LBB64_21
.LBB64_14:                              ;   Parent Loop BB64_10 Depth=1
                                        ; =>  This Loop Header: Depth=2
                                        ;       Child Loop BB64_17 Depth 3
	s_and_saveexec_b64 s[28:29], s[0:1]
	s_cbranch_execz .LBB64_13
; %bb.15:                               ;   in Loop: Header=BB64_14 Depth=2
	s_ashr_i32 s7, s6, 31
	s_lshl_b64 s[30:31], s[6:7], 2
	s_add_u32 s30, s12, s30
	s_addc_u32 s31, s13, s31
	s_load_dword s30, s[30:31], 0x0
	s_mul_i32 s31, s21, s6
	v_mov_b32_e32 v6, s6
	s_mul_i32 s7, s33, s7
	s_add_i32 s7, s7, s31
	s_waitcnt lgkmcnt(0)
	s_sub_i32 s34, s30, s16
	v_mad_u64_u32 v[6:7], s[30:31], s33, v6, v[2:3]
	v_add_u32_e32 v7, s7, v7
	s_mul_i32 s7, s34, s17
	s_mov_b64 s[30:31], 0
	v_mov_b32_e32 v15, v13
	v_pk_mov_b32 v[8:9], v[0:1], v[0:1] op_sel:[0,1]
	s_branch .LBB64_17
.LBB64_16:                              ;   in Loop: Header=BB64_17 Depth=3
	v_lshlrev_b64 v[10:11], 1, v[10:11]
	v_mov_b32_e32 v16, s15
	v_add_co_u32_e32 v10, vcc, s14, v10
	v_addc_co_u32_e32 v11, vcc, v16, v11, vcc
	global_load_ushort v16, v[10:11], off
	v_add_u32_e32 v10, s7, v8
	v_ashrrev_i32_e32 v11, 31, v10
	v_lshlrev_b64 v[10:11], 1, v[10:11]
	v_mov_b32_e32 v17, s23
	v_add_co_u32_e32 v10, vcc, s22, v10
	v_addc_co_u32_e32 v11, vcc, v17, v11, vcc
	global_load_ushort v10, v[10:11], off
	v_add_co_u32_e32 v8, vcc, 16, v8
	v_addc_co_u32_e32 v9, vcc, 0, v9, vcc
	v_cmp_le_i32_e32 vcc, s17, v8
	s_or_b64 s[30:31], vcc, s[30:31]
	v_add_u32_e32 v15, s40, v15
	s_waitcnt vmcnt(1)
	v_lshlrev_b32_e32 v11, 16, v16
	s_waitcnt vmcnt(0)
	v_lshlrev_b32_e32 v10, 16, v10
	v_fmac_f32_e32 v14, v11, v10
	s_andn2_b64 exec, exec, s[30:31]
	s_cbranch_execz .LBB64_12
.LBB64_17:                              ;   Parent Loop BB64_10 Depth=1
                                        ;     Parent Loop BB64_14 Depth=2
                                        ; =>    This Inner Loop Header: Depth=3
	s_and_b64 vcc, exec, s[10:11]
	s_cbranch_vccz .LBB64_19
; %bb.18:                               ;   in Loop: Header=BB64_17 Depth=3
	v_ashrrev_i32_e32 v11, 31, v15
	v_add_co_u32_e32 v10, vcc, v6, v15
	v_addc_co_u32_e32 v11, vcc, v7, v11, vcc
	s_cbranch_execnz .LBB64_16
	s_branch .LBB64_20
.LBB64_19:                              ;   in Loop: Header=BB64_17 Depth=3
                                        ; implicit-def: $vgpr10_vgpr11
.LBB64_20:                              ;   in Loop: Header=BB64_17 Depth=3
	v_add_co_u32_e32 v10, vcc, v4, v8
	v_addc_co_u32_e32 v11, vcc, v5, v9, vcc
	s_branch .LBB64_16
.LBB64_21:                              ;   in Loop: Header=BB64_10 Depth=1
	s_nop 0
	v_mov_b32_dpp v3, v14 row_shr:1 row_mask:0xf bank_mask:0xf
	v_add_f32_e32 v3, v14, v3
	s_nop 1
	v_mov_b32_dpp v4, v3 row_shr:2 row_mask:0xf bank_mask:0xf
	v_add_f32_e32 v3, v3, v4
	;; [unrolled: 3-line block ×3, first 2 shown]
	s_nop 1
	v_mov_b32_dpp v4, v3 row_shr:8 row_mask:0xf bank_mask:0xc
	s_and_saveexec_b64 s[6:7], s[2:3]
	s_cbranch_execz .LBB64_9
; %bb.22:                               ;   in Loop: Header=BB64_10 Depth=1
	v_add_f32_e32 v3, v3, v4
	v_add_u32_e32 v4, s37, v2
	s_and_b64 vcc, exec, s[26:27]
	v_mul_f32_e32 v3, s18, v3
	v_ashrrev_i32_e32 v5, 31, v4
	s_cbranch_vccz .LBB64_24
; %bb.23:                               ;   in Loop: Header=BB64_10 Depth=1
	v_lshlrev_b64 v[6:7], 2, v[4:5]
	v_mov_b32_e32 v8, s9
	v_add_co_u32_e32 v6, vcc, s8, v6
	v_addc_co_u32_e32 v7, vcc, v8, v7, vcc
	global_store_dword v[6:7], v3, off
	s_cbranch_execnz .LBB64_9
	s_branch .LBB64_25
.LBB64_24:                              ;   in Loop: Header=BB64_10 Depth=1
.LBB64_25:                              ;   in Loop: Header=BB64_10 Depth=1
	v_lshlrev_b64 v[4:5], 2, v[4:5]
	v_mov_b32_e32 v6, s9
	v_add_co_u32_e32 v4, vcc, s8, v4
	v_addc_co_u32_e32 v5, vcc, v6, v5, vcc
	global_load_dword v6, v[4:5], off
	s_waitcnt vmcnt(0)
	v_fmac_f32_e32 v3, s20, v6
	global_store_dword v[4:5], v3, off
	s_branch .LBB64_9
.LBB64_26:
	s_endpgm
	.section	.rodata,"a",@progbits
	.p2align	6, 0x0
	.amdhsa_kernel _ZN9rocsparseL22bsrxmvn_general_kernelILj256ELj16Efii18rocsparse_bfloat16S1_fEEv20rocsparse_direction_NS_24const_host_device_scalarIT1_EET3_PKS6_PKT2_SB_S8_PKT4_S6_PKT5_S5_PT6_21rocsparse_index_base_b
		.amdhsa_group_segment_fixed_size 0
		.amdhsa_private_segment_fixed_size 0
		.amdhsa_kernarg_size 104
		.amdhsa_user_sgpr_count 6
		.amdhsa_user_sgpr_private_segment_buffer 1
		.amdhsa_user_sgpr_dispatch_ptr 0
		.amdhsa_user_sgpr_queue_ptr 0
		.amdhsa_user_sgpr_kernarg_segment_ptr 1
		.amdhsa_user_sgpr_dispatch_id 0
		.amdhsa_user_sgpr_flat_scratch_init 0
		.amdhsa_user_sgpr_kernarg_preload_length 0
		.amdhsa_user_sgpr_kernarg_preload_offset 0
		.amdhsa_user_sgpr_private_segment_size 0
		.amdhsa_uses_dynamic_stack 0
		.amdhsa_system_sgpr_private_segment_wavefront_offset 0
		.amdhsa_system_sgpr_workgroup_id_x 1
		.amdhsa_system_sgpr_workgroup_id_y 0
		.amdhsa_system_sgpr_workgroup_id_z 0
		.amdhsa_system_sgpr_workgroup_info 0
		.amdhsa_system_vgpr_workitem_id 0
		.amdhsa_next_free_vgpr 18
		.amdhsa_next_free_sgpr 41
		.amdhsa_accum_offset 20
		.amdhsa_reserve_vcc 1
		.amdhsa_reserve_flat_scratch 0
		.amdhsa_float_round_mode_32 0
		.amdhsa_float_round_mode_16_64 0
		.amdhsa_float_denorm_mode_32 3
		.amdhsa_float_denorm_mode_16_64 3
		.amdhsa_dx10_clamp 1
		.amdhsa_ieee_mode 1
		.amdhsa_fp16_overflow 0
		.amdhsa_tg_split 0
		.amdhsa_exception_fp_ieee_invalid_op 0
		.amdhsa_exception_fp_denorm_src 0
		.amdhsa_exception_fp_ieee_div_zero 0
		.amdhsa_exception_fp_ieee_overflow 0
		.amdhsa_exception_fp_ieee_underflow 0
		.amdhsa_exception_fp_ieee_inexact 0
		.amdhsa_exception_int_div_zero 0
	.end_amdhsa_kernel
	.section	.text._ZN9rocsparseL22bsrxmvn_general_kernelILj256ELj16Efii18rocsparse_bfloat16S1_fEEv20rocsparse_direction_NS_24const_host_device_scalarIT1_EET3_PKS6_PKT2_SB_S8_PKT4_S6_PKT5_S5_PT6_21rocsparse_index_base_b,"axG",@progbits,_ZN9rocsparseL22bsrxmvn_general_kernelILj256ELj16Efii18rocsparse_bfloat16S1_fEEv20rocsparse_direction_NS_24const_host_device_scalarIT1_EET3_PKS6_PKT2_SB_S8_PKT4_S6_PKT5_S5_PT6_21rocsparse_index_base_b,comdat
.Lfunc_end64:
	.size	_ZN9rocsparseL22bsrxmvn_general_kernelILj256ELj16Efii18rocsparse_bfloat16S1_fEEv20rocsparse_direction_NS_24const_host_device_scalarIT1_EET3_PKS6_PKT2_SB_S8_PKT4_S6_PKT5_S5_PT6_21rocsparse_index_base_b, .Lfunc_end64-_ZN9rocsparseL22bsrxmvn_general_kernelILj256ELj16Efii18rocsparse_bfloat16S1_fEEv20rocsparse_direction_NS_24const_host_device_scalarIT1_EET3_PKS6_PKT2_SB_S8_PKT4_S6_PKT5_S5_PT6_21rocsparse_index_base_b
                                        ; -- End function
	.section	.AMDGPU.csdata,"",@progbits
; Kernel info:
; codeLenInByte = 956
; NumSgprs: 45
; NumVgprs: 18
; NumAgprs: 0
; TotalNumVgprs: 18
; ScratchSize: 0
; MemoryBound: 0
; FloatMode: 240
; IeeeMode: 1
; LDSByteSize: 0 bytes/workgroup (compile time only)
; SGPRBlocks: 5
; VGPRBlocks: 2
; NumSGPRsForWavesPerEU: 45
; NumVGPRsForWavesPerEU: 18
; AccumOffset: 20
; Occupancy: 8
; WaveLimiterHint : 1
; COMPUTE_PGM_RSRC2:SCRATCH_EN: 0
; COMPUTE_PGM_RSRC2:USER_SGPR: 6
; COMPUTE_PGM_RSRC2:TRAP_HANDLER: 0
; COMPUTE_PGM_RSRC2:TGID_X_EN: 1
; COMPUTE_PGM_RSRC2:TGID_Y_EN: 0
; COMPUTE_PGM_RSRC2:TGID_Z_EN: 0
; COMPUTE_PGM_RSRC2:TIDIG_COMP_CNT: 0
; COMPUTE_PGM_RSRC3_GFX90A:ACCUM_OFFSET: 4
; COMPUTE_PGM_RSRC3_GFX90A:TG_SPLIT: 0
	.section	.text._ZN9rocsparseL22bsrxmvn_general_kernelILj1024ELj32Efii18rocsparse_bfloat16S1_fEEv20rocsparse_direction_NS_24const_host_device_scalarIT1_EET3_PKS6_PKT2_SB_S8_PKT4_S6_PKT5_S5_PT6_21rocsparse_index_base_b,"axG",@progbits,_ZN9rocsparseL22bsrxmvn_general_kernelILj1024ELj32Efii18rocsparse_bfloat16S1_fEEv20rocsparse_direction_NS_24const_host_device_scalarIT1_EET3_PKS6_PKT2_SB_S8_PKT4_S6_PKT5_S5_PT6_21rocsparse_index_base_b,comdat
	.globl	_ZN9rocsparseL22bsrxmvn_general_kernelILj1024ELj32Efii18rocsparse_bfloat16S1_fEEv20rocsparse_direction_NS_24const_host_device_scalarIT1_EET3_PKS6_PKT2_SB_S8_PKT4_S6_PKT5_S5_PT6_21rocsparse_index_base_b ; -- Begin function _ZN9rocsparseL22bsrxmvn_general_kernelILj1024ELj32Efii18rocsparse_bfloat16S1_fEEv20rocsparse_direction_NS_24const_host_device_scalarIT1_EET3_PKS6_PKT2_SB_S8_PKT4_S6_PKT5_S5_PT6_21rocsparse_index_base_b
	.p2align	8
	.type	_ZN9rocsparseL22bsrxmvn_general_kernelILj1024ELj32Efii18rocsparse_bfloat16S1_fEEv20rocsparse_direction_NS_24const_host_device_scalarIT1_EET3_PKS6_PKT2_SB_S8_PKT4_S6_PKT5_S5_PT6_21rocsparse_index_base_b,@function
_ZN9rocsparseL22bsrxmvn_general_kernelILj1024ELj32Efii18rocsparse_bfloat16S1_fEEv20rocsparse_direction_NS_24const_host_device_scalarIT1_EET3_PKS6_PKT2_SB_S8_PKT4_S6_PKT5_S5_PT6_21rocsparse_index_base_b: ; @_ZN9rocsparseL22bsrxmvn_general_kernelILj1024ELj32Efii18rocsparse_bfloat16S1_fEEv20rocsparse_direction_NS_24const_host_device_scalarIT1_EET3_PKS6_PKT2_SB_S8_PKT4_S6_PKT5_S5_PT6_21rocsparse_index_base_b
; %bb.0:
	s_load_dwordx2 s[16:17], s[4:5], 0x60
	s_load_dwordx2 s[18:19], s[4:5], 0x8
	s_load_dwordx2 s[20:21], s[4:5], 0x50
	s_waitcnt lgkmcnt(0)
	s_bitcmp1_b32 s17, 0
	s_cselect_b64 s[2:3], -1, 0
	s_xor_b64 s[0:1], s[2:3], -1
	s_and_b64 vcc, exec, s[2:3]
	s_cbranch_vccnz .LBB65_2
; %bb.1:
	s_load_dword s18, s[18:19], 0x0
.LBB65_2:
	s_andn2_b64 vcc, exec, s[0:1]
	s_cbranch_vccnz .LBB65_4
; %bb.3:
	s_load_dword s20, s[20:21], 0x0
.LBB65_4:
	s_waitcnt lgkmcnt(0)
	v_cmp_neq_f32_e64 s[0:1], s18, 0
	v_cmp_neq_f32_e64 s[2:3], s20, 1.0
	s_or_b64 s[0:1], s[0:1], s[2:3]
	s_andn2_b64 vcc, exec, s[0:1]
	s_cbranch_vccnz .LBB65_26
; %bb.5:
	s_load_dwordx2 s[0:1], s[4:5], 0x18
	s_waitcnt lgkmcnt(0)
	s_cmp_eq_u64 s[0:1], 0
	s_cbranch_scc1 .LBB65_7
; %bb.6:
	s_ashr_i32 s7, s6, 31
	s_lshl_b64 s[2:3], s[6:7], 2
	s_add_u32 s0, s0, s2
	s_addc_u32 s1, s1, s3
	s_load_dword s0, s[0:1], 0x0
	s_waitcnt lgkmcnt(0)
	s_sub_i32 s6, s0, s16
.LBB65_7:
	s_load_dword s17, s[4:5], 0x40
	v_lshrrev_b32_e32 v2, 5, v0
	s_waitcnt lgkmcnt(0)
	v_cmp_gt_i32_e32 vcc, s17, v2
	s_and_saveexec_b64 s[0:1], vcc
	s_cbranch_execz .LBB65_26
; %bb.8:
	s_load_dwordx8 s[8:15], s[4:5], 0x20
	s_ashr_i32 s7, s6, 31
	s_lshl_b64 s[0:1], s[6:7], 2
	s_mul_hi_u32 s21, s17, s17
	s_mul_i32 s33, s17, s17
	s_waitcnt lgkmcnt(0)
	s_add_u32 s2, s8, s0
	s_addc_u32 s3, s9, s1
	s_load_dword s7, s[2:3], 0x0
	s_load_dwordx2 s[8:9], s[4:5], 0x58
	s_load_dwordx2 s[22:23], s[4:5], 0x48
	s_mul_i32 s37, s6, s17
	v_and_b32_e32 v0, 31, v0
	s_waitcnt lgkmcnt(0)
	s_sub_i32 s19, s7, s16
	s_add_u32 s2, s2, 4
	s_addc_u32 s3, s3, 0
	s_add_u32 s0, s10, s0
	s_addc_u32 s1, s11, s1
	s_cmp_eq_u64 s[10:11], 0
	s_cselect_b32 s1, s3, s1
	s_cselect_b32 s0, s2, s0
	s_load_dword s2, s[0:1], 0x0
	s_load_dword s3, s[4:5], 0x0
	s_mul_hi_u32 s28, s19, s33
	v_mov_b32_e32 v3, 0
	s_mov_b64 s[24:25], 0
	s_waitcnt lgkmcnt(0)
	s_sub_i32 s36, s2, s16
	s_cmp_lt_i32 s7, s2
	s_cselect_b64 s[4:5], -1, 0
	s_cmp_lg_u32 s3, 0
	s_cselect_b64 s[10:11], -1, 0
	s_ashr_i32 s6, s19, 31
	s_mul_i32 s7, s19, s21
	s_add_i32 s7, s28, s7
	s_mul_i32 s6, s6, s33
	v_cndmask_b32_e64 v4, 0, 1, s[4:5]
	v_cmp_gt_u32_e64 s[0:1], s17, v0
	v_cmp_eq_u32_e64 s[2:3], 31, v0
	v_cmp_eq_f32_e64 s[26:27], s20, 0
	s_add_i32 s38, s7, s6
	s_mul_i32 s39, s19, s33
	v_mul_lo_u32 v12, s17, v2
	s_lshl_b32 s40, s17, 5
	v_mov_b32_e32 v1, v3
	v_mul_lo_u32 v13, s17, v0
	v_cmp_ne_u32_e64 s[4:5], 1, v4
	s_branch .LBB65_10
.LBB65_9:                               ;   in Loop: Header=BB65_10 Depth=1
	s_or_b64 exec, exec, s[6:7]
	v_add_u32_e32 v2, 32, v2
	v_cmp_le_i32_e32 vcc, s17, v2
	s_or_b64 s[24:25], vcc, s[24:25]
	v_add_u32_e32 v12, s40, v12
	s_andn2_b64 exec, exec, s[24:25]
	s_cbranch_execz .LBB65_26
.LBB65_10:                              ; =>This Loop Header: Depth=1
                                        ;     Child Loop BB65_14 Depth 2
                                        ;       Child Loop BB65_17 Depth 3
	s_and_b64 vcc, exec, s[4:5]
	v_mov_b32_e32 v14, 0
	s_cbranch_vccnz .LBB65_21
; %bb.11:                               ;   in Loop: Header=BB65_10 Depth=1
	v_ashrrev_i32_e32 v5, 31, v12
	v_mov_b32_e32 v6, s38
	v_add_co_u32_e32 v4, vcc, s39, v12
	v_addc_co_u32_e32 v5, vcc, v6, v5, vcc
	v_mov_b32_e32 v14, 0
	s_mov_b32 s6, s19
	s_branch .LBB65_14
.LBB65_12:                              ;   in Loop: Header=BB65_14 Depth=2
	s_or_b64 exec, exec, s[30:31]
.LBB65_13:                              ;   in Loop: Header=BB65_14 Depth=2
	s_or_b64 exec, exec, s[28:29]
	s_add_i32 s6, s6, 1
	v_mov_b32_e32 v6, s21
	v_add_co_u32_e32 v4, vcc, s33, v4
	s_cmp_ge_i32 s6, s36
	v_addc_co_u32_e32 v5, vcc, v5, v6, vcc
	s_cbranch_scc1 .LBB65_21
.LBB65_14:                              ;   Parent Loop BB65_10 Depth=1
                                        ; =>  This Loop Header: Depth=2
                                        ;       Child Loop BB65_17 Depth 3
	s_and_saveexec_b64 s[28:29], s[0:1]
	s_cbranch_execz .LBB65_13
; %bb.15:                               ;   in Loop: Header=BB65_14 Depth=2
	s_ashr_i32 s7, s6, 31
	s_lshl_b64 s[30:31], s[6:7], 2
	s_add_u32 s30, s12, s30
	s_addc_u32 s31, s13, s31
	s_load_dword s30, s[30:31], 0x0
	s_mul_i32 s31, s21, s6
	v_mov_b32_e32 v6, s6
	s_mul_i32 s7, s33, s7
	s_add_i32 s7, s7, s31
	s_waitcnt lgkmcnt(0)
	s_sub_i32 s34, s30, s16
	v_mad_u64_u32 v[6:7], s[30:31], s33, v6, v[2:3]
	v_add_u32_e32 v7, s7, v7
	s_mul_i32 s7, s34, s17
	s_mov_b64 s[30:31], 0
	v_mov_b32_e32 v15, v13
	v_pk_mov_b32 v[8:9], v[0:1], v[0:1] op_sel:[0,1]
	s_branch .LBB65_17
.LBB65_16:                              ;   in Loop: Header=BB65_17 Depth=3
	v_lshlrev_b64 v[10:11], 1, v[10:11]
	v_mov_b32_e32 v16, s15
	v_add_co_u32_e32 v10, vcc, s14, v10
	v_addc_co_u32_e32 v11, vcc, v16, v11, vcc
	global_load_ushort v16, v[10:11], off
	v_add_u32_e32 v10, s7, v8
	v_ashrrev_i32_e32 v11, 31, v10
	v_lshlrev_b64 v[10:11], 1, v[10:11]
	v_mov_b32_e32 v17, s23
	v_add_co_u32_e32 v10, vcc, s22, v10
	v_addc_co_u32_e32 v11, vcc, v17, v11, vcc
	global_load_ushort v10, v[10:11], off
	v_add_co_u32_e32 v8, vcc, 32, v8
	v_addc_co_u32_e32 v9, vcc, 0, v9, vcc
	v_cmp_le_i32_e32 vcc, s17, v8
	s_or_b64 s[30:31], vcc, s[30:31]
	v_add_u32_e32 v15, s40, v15
	s_waitcnt vmcnt(1)
	v_lshlrev_b32_e32 v11, 16, v16
	s_waitcnt vmcnt(0)
	v_lshlrev_b32_e32 v10, 16, v10
	v_fmac_f32_e32 v14, v11, v10
	s_andn2_b64 exec, exec, s[30:31]
	s_cbranch_execz .LBB65_12
.LBB65_17:                              ;   Parent Loop BB65_10 Depth=1
                                        ;     Parent Loop BB65_14 Depth=2
                                        ; =>    This Inner Loop Header: Depth=3
	s_and_b64 vcc, exec, s[10:11]
	s_cbranch_vccz .LBB65_19
; %bb.18:                               ;   in Loop: Header=BB65_17 Depth=3
	v_ashrrev_i32_e32 v11, 31, v15
	v_add_co_u32_e32 v10, vcc, v6, v15
	v_addc_co_u32_e32 v11, vcc, v7, v11, vcc
	s_cbranch_execnz .LBB65_16
	s_branch .LBB65_20
.LBB65_19:                              ;   in Loop: Header=BB65_17 Depth=3
                                        ; implicit-def: $vgpr10_vgpr11
.LBB65_20:                              ;   in Loop: Header=BB65_17 Depth=3
	v_add_co_u32_e32 v10, vcc, v4, v8
	v_addc_co_u32_e32 v11, vcc, v5, v9, vcc
	s_branch .LBB65_16
.LBB65_21:                              ;   in Loop: Header=BB65_10 Depth=1
	s_nop 0
	v_mov_b32_dpp v4, v14 row_shr:1 row_mask:0xf bank_mask:0xf
	v_add_f32_e32 v4, v14, v4
	s_nop 1
	v_mov_b32_dpp v5, v4 row_shr:2 row_mask:0xf bank_mask:0xf
	v_add_f32_e32 v4, v4, v5
	;; [unrolled: 3-line block ×4, first 2 shown]
	s_nop 1
	v_mov_b32_dpp v5, v4 row_bcast:15 row_mask:0xa bank_mask:0xf
	s_and_saveexec_b64 s[6:7], s[2:3]
	s_cbranch_execz .LBB65_9
; %bb.22:                               ;   in Loop: Header=BB65_10 Depth=1
	v_add_f32_e32 v4, v4, v5
	v_mul_f32_e32 v6, s18, v4
	v_add_u32_e32 v4, s37, v2
	s_and_b64 vcc, exec, s[26:27]
	v_ashrrev_i32_e32 v5, 31, v4
	s_cbranch_vccz .LBB65_24
; %bb.23:                               ;   in Loop: Header=BB65_10 Depth=1
	v_lshlrev_b64 v[8:9], 2, v[4:5]
	v_mov_b32_e32 v7, s9
	v_add_co_u32_e32 v8, vcc, s8, v8
	v_addc_co_u32_e32 v9, vcc, v7, v9, vcc
	global_store_dword v[8:9], v6, off
	s_cbranch_execnz .LBB65_9
	s_branch .LBB65_25
.LBB65_24:                              ;   in Loop: Header=BB65_10 Depth=1
.LBB65_25:                              ;   in Loop: Header=BB65_10 Depth=1
	v_lshlrev_b64 v[4:5], 2, v[4:5]
	v_mov_b32_e32 v7, s9
	v_add_co_u32_e32 v4, vcc, s8, v4
	v_addc_co_u32_e32 v5, vcc, v7, v5, vcc
	global_load_dword v7, v[4:5], off
	s_waitcnt vmcnt(0)
	v_fmac_f32_e32 v6, s20, v7
	global_store_dword v[4:5], v6, off
	s_branch .LBB65_9
.LBB65_26:
	s_endpgm
	.section	.rodata,"a",@progbits
	.p2align	6, 0x0
	.amdhsa_kernel _ZN9rocsparseL22bsrxmvn_general_kernelILj1024ELj32Efii18rocsparse_bfloat16S1_fEEv20rocsparse_direction_NS_24const_host_device_scalarIT1_EET3_PKS6_PKT2_SB_S8_PKT4_S6_PKT5_S5_PT6_21rocsparse_index_base_b
		.amdhsa_group_segment_fixed_size 0
		.amdhsa_private_segment_fixed_size 0
		.amdhsa_kernarg_size 104
		.amdhsa_user_sgpr_count 6
		.amdhsa_user_sgpr_private_segment_buffer 1
		.amdhsa_user_sgpr_dispatch_ptr 0
		.amdhsa_user_sgpr_queue_ptr 0
		.amdhsa_user_sgpr_kernarg_segment_ptr 1
		.amdhsa_user_sgpr_dispatch_id 0
		.amdhsa_user_sgpr_flat_scratch_init 0
		.amdhsa_user_sgpr_kernarg_preload_length 0
		.amdhsa_user_sgpr_kernarg_preload_offset 0
		.amdhsa_user_sgpr_private_segment_size 0
		.amdhsa_uses_dynamic_stack 0
		.amdhsa_system_sgpr_private_segment_wavefront_offset 0
		.amdhsa_system_sgpr_workgroup_id_x 1
		.amdhsa_system_sgpr_workgroup_id_y 0
		.amdhsa_system_sgpr_workgroup_id_z 0
		.amdhsa_system_sgpr_workgroup_info 0
		.amdhsa_system_vgpr_workitem_id 0
		.amdhsa_next_free_vgpr 18
		.amdhsa_next_free_sgpr 41
		.amdhsa_accum_offset 20
		.amdhsa_reserve_vcc 1
		.amdhsa_reserve_flat_scratch 0
		.amdhsa_float_round_mode_32 0
		.amdhsa_float_round_mode_16_64 0
		.amdhsa_float_denorm_mode_32 3
		.amdhsa_float_denorm_mode_16_64 3
		.amdhsa_dx10_clamp 1
		.amdhsa_ieee_mode 1
		.amdhsa_fp16_overflow 0
		.amdhsa_tg_split 0
		.amdhsa_exception_fp_ieee_invalid_op 0
		.amdhsa_exception_fp_denorm_src 0
		.amdhsa_exception_fp_ieee_div_zero 0
		.amdhsa_exception_fp_ieee_overflow 0
		.amdhsa_exception_fp_ieee_underflow 0
		.amdhsa_exception_fp_ieee_inexact 0
		.amdhsa_exception_int_div_zero 0
	.end_amdhsa_kernel
	.section	.text._ZN9rocsparseL22bsrxmvn_general_kernelILj1024ELj32Efii18rocsparse_bfloat16S1_fEEv20rocsparse_direction_NS_24const_host_device_scalarIT1_EET3_PKS6_PKT2_SB_S8_PKT4_S6_PKT5_S5_PT6_21rocsparse_index_base_b,"axG",@progbits,_ZN9rocsparseL22bsrxmvn_general_kernelILj1024ELj32Efii18rocsparse_bfloat16S1_fEEv20rocsparse_direction_NS_24const_host_device_scalarIT1_EET3_PKS6_PKT2_SB_S8_PKT4_S6_PKT5_S5_PT6_21rocsparse_index_base_b,comdat
.Lfunc_end65:
	.size	_ZN9rocsparseL22bsrxmvn_general_kernelILj1024ELj32Efii18rocsparse_bfloat16S1_fEEv20rocsparse_direction_NS_24const_host_device_scalarIT1_EET3_PKS6_PKT2_SB_S8_PKT4_S6_PKT5_S5_PT6_21rocsparse_index_base_b, .Lfunc_end65-_ZN9rocsparseL22bsrxmvn_general_kernelILj1024ELj32Efii18rocsparse_bfloat16S1_fEEv20rocsparse_direction_NS_24const_host_device_scalarIT1_EET3_PKS6_PKT2_SB_S8_PKT4_S6_PKT5_S5_PT6_21rocsparse_index_base_b
                                        ; -- End function
	.section	.AMDGPU.csdata,"",@progbits
; Kernel info:
; codeLenInByte = 972
; NumSgprs: 45
; NumVgprs: 18
; NumAgprs: 0
; TotalNumVgprs: 18
; ScratchSize: 0
; MemoryBound: 0
; FloatMode: 240
; IeeeMode: 1
; LDSByteSize: 0 bytes/workgroup (compile time only)
; SGPRBlocks: 5
; VGPRBlocks: 2
; NumSGPRsForWavesPerEU: 45
; NumVGPRsForWavesPerEU: 18
; AccumOffset: 20
; Occupancy: 8
; WaveLimiterHint : 1
; COMPUTE_PGM_RSRC2:SCRATCH_EN: 0
; COMPUTE_PGM_RSRC2:USER_SGPR: 6
; COMPUTE_PGM_RSRC2:TRAP_HANDLER: 0
; COMPUTE_PGM_RSRC2:TGID_X_EN: 1
; COMPUTE_PGM_RSRC2:TGID_Y_EN: 0
; COMPUTE_PGM_RSRC2:TGID_Z_EN: 0
; COMPUTE_PGM_RSRC2:TIDIG_COMP_CNT: 0
; COMPUTE_PGM_RSRC3_GFX90A:ACCUM_OFFSET: 4
; COMPUTE_PGM_RSRC3_GFX90A:TG_SPLIT: 0
	.section	.text._ZN9rocsparseL22bsrxmvn_general_kernelILj64ELj8Efli18rocsparse_bfloat16S1_fEEv20rocsparse_direction_NS_24const_host_device_scalarIT1_EET3_PKS6_PKT2_SB_S8_PKT4_S6_PKT5_S5_PT6_21rocsparse_index_base_b,"axG",@progbits,_ZN9rocsparseL22bsrxmvn_general_kernelILj64ELj8Efli18rocsparse_bfloat16S1_fEEv20rocsparse_direction_NS_24const_host_device_scalarIT1_EET3_PKS6_PKT2_SB_S8_PKT4_S6_PKT5_S5_PT6_21rocsparse_index_base_b,comdat
	.globl	_ZN9rocsparseL22bsrxmvn_general_kernelILj64ELj8Efli18rocsparse_bfloat16S1_fEEv20rocsparse_direction_NS_24const_host_device_scalarIT1_EET3_PKS6_PKT2_SB_S8_PKT4_S6_PKT5_S5_PT6_21rocsparse_index_base_b ; -- Begin function _ZN9rocsparseL22bsrxmvn_general_kernelILj64ELj8Efli18rocsparse_bfloat16S1_fEEv20rocsparse_direction_NS_24const_host_device_scalarIT1_EET3_PKS6_PKT2_SB_S8_PKT4_S6_PKT5_S5_PT6_21rocsparse_index_base_b
	.p2align	8
	.type	_ZN9rocsparseL22bsrxmvn_general_kernelILj64ELj8Efli18rocsparse_bfloat16S1_fEEv20rocsparse_direction_NS_24const_host_device_scalarIT1_EET3_PKS6_PKT2_SB_S8_PKT4_S6_PKT5_S5_PT6_21rocsparse_index_base_b,@function
_ZN9rocsparseL22bsrxmvn_general_kernelILj64ELj8Efli18rocsparse_bfloat16S1_fEEv20rocsparse_direction_NS_24const_host_device_scalarIT1_EET3_PKS6_PKT2_SB_S8_PKT4_S6_PKT5_S5_PT6_21rocsparse_index_base_b: ; @_ZN9rocsparseL22bsrxmvn_general_kernelILj64ELj8Efli18rocsparse_bfloat16S1_fEEv20rocsparse_direction_NS_24const_host_device_scalarIT1_EET3_PKS6_PKT2_SB_S8_PKT4_S6_PKT5_S5_PT6_21rocsparse_index_base_b
; %bb.0:
	s_load_dwordx2 s[16:17], s[4:5], 0x60
	s_load_dwordx2 s[18:19], s[4:5], 0x8
	;; [unrolled: 1-line block ×3, first 2 shown]
	s_waitcnt lgkmcnt(0)
	s_bitcmp1_b32 s17, 0
	s_cselect_b64 s[2:3], -1, 0
	s_xor_b64 s[0:1], s[2:3], -1
	s_and_b64 vcc, exec, s[2:3]
	s_cbranch_vccnz .LBB66_2
; %bb.1:
	s_load_dword s18, s[18:19], 0x0
.LBB66_2:
	s_andn2_b64 vcc, exec, s[0:1]
	s_cbranch_vccnz .LBB66_4
; %bb.3:
	s_load_dword s20, s[20:21], 0x0
.LBB66_4:
	s_waitcnt lgkmcnt(0)
	v_cmp_neq_f32_e64 s[0:1], s18, 0
	v_cmp_neq_f32_e64 s[2:3], s20, 1.0
	s_or_b64 s[0:1], s[0:1], s[2:3]
	s_andn2_b64 vcc, exec, s[0:1]
	s_cbranch_vccnz .LBB66_26
; %bb.5:
	s_load_dwordx2 s[0:1], s[4:5], 0x18
	s_waitcnt lgkmcnt(0)
	s_cmp_eq_u64 s[0:1], 0
	s_cbranch_scc1 .LBB66_7
; %bb.6:
	s_ashr_i32 s7, s6, 31
	s_lshl_b64 s[2:3], s[6:7], 2
	s_add_u32 s0, s0, s2
	s_addc_u32 s1, s1, s3
	s_load_dword s0, s[0:1], 0x0
	s_waitcnt lgkmcnt(0)
	s_sub_i32 s6, s0, s16
.LBB66_7:
	s_load_dword s17, s[4:5], 0x40
	v_lshrrev_b32_e32 v2, 3, v0
	s_waitcnt lgkmcnt(0)
	v_cmp_gt_i32_e32 vcc, s17, v2
	s_and_saveexec_b64 s[0:1], vcc
	s_cbranch_execz .LBB66_26
; %bb.8:
	s_load_dwordx8 s[8:15], s[4:5], 0x20
	s_ashr_i32 s7, s6, 31
	s_lshl_b64 s[0:1], s[6:7], 3
	s_mul_hi_u32 s19, s17, s17
	s_mul_i32 s21, s17, s17
	s_waitcnt lgkmcnt(0)
	s_add_u32 s2, s8, s0
	s_addc_u32 s3, s9, s1
	s_load_dwordx2 s[34:35], s[2:3], 0x0
	s_load_dwordx2 s[8:9], s[4:5], 0x58
	;; [unrolled: 1-line block ×3, first 2 shown]
	v_and_b32_e32 v0, 7, v0
	s_mov_b64 s[24:25], 0
	s_waitcnt lgkmcnt(0)
	s_sub_u32 s26, s34, s16
	s_subb_u32 s27, s35, 0
	s_add_u32 s2, s2, 8
	s_addc_u32 s3, s3, 0
	s_add_u32 s0, s10, s0
	s_addc_u32 s1, s11, s1
	s_cmp_eq_u64 s[10:11], 0
	s_cselect_b32 s1, s3, s1
	s_cselect_b32 s0, s2, s0
	s_load_dwordx2 s[2:3], s[0:1], 0x0
	s_load_dword s7, s[4:5], 0x0
	s_mul_i32 s4, s26, s19
	s_mul_hi_u32 s5, s26, s21
	v_cmp_gt_u32_e64 s[0:1], s17, v0
	s_waitcnt lgkmcnt(0)
	s_sub_u32 s10, s2, s16
	v_pk_mov_b32 v[4:5], s[2:3], s[2:3] op_sel:[0,1]
	s_subb_u32 s11, s3, 0
	s_cmp_lg_u32 s7, 0
	v_cmp_lt_i64_e32 vcc, s[34:35], v[4:5]
	s_cselect_b64 s[28:29], -1, 0
	s_add_i32 s4, s5, s4
	s_mul_i32 s5, s27, s21
	v_cndmask_b32_e64 v3, 0, 1, vcc
	v_cmp_eq_u32_e64 s[2:3], 7, v0
	v_cmp_eq_f32_e64 s[30:31], s20, 0
	s_mul_i32 s33, s6, s17
	s_add_i32 s40, s4, s5
	s_mul_i32 s41, s26, s21
	v_mul_lo_u32 v12, s17, v2
	s_lshl_b32 s42, s17, 3
	v_mov_b32_e32 v1, 0
	v_mul_lo_u32 v13, s17, v0
	v_cmp_ne_u32_e64 s[4:5], 1, v3
	s_branch .LBB66_10
.LBB66_9:                               ;   in Loop: Header=BB66_10 Depth=1
	s_or_b64 exec, exec, s[6:7]
	v_add_u32_e32 v2, 8, v2
	v_cmp_le_i32_e32 vcc, s17, v2
	s_or_b64 s[24:25], vcc, s[24:25]
	v_add_u32_e32 v12, s42, v12
	s_andn2_b64 exec, exec, s[24:25]
	s_cbranch_execz .LBB66_26
.LBB66_10:                              ; =>This Loop Header: Depth=1
                                        ;     Child Loop BB66_14 Depth 2
                                        ;       Child Loop BB66_17 Depth 3
	s_and_b64 vcc, exec, s[4:5]
	v_mov_b32_e32 v14, 0
	s_cbranch_vccnz .LBB66_21
; %bb.11:                               ;   in Loop: Header=BB66_10 Depth=1
	v_ashrrev_i32_e32 v3, 31, v12
	v_mov_b32_e32 v5, s40
	v_add_co_u32_e32 v4, vcc, s41, v12
	v_addc_co_u32_e32 v5, vcc, v5, v3, vcc
	v_ashrrev_i32_e32 v3, 31, v2
	v_mov_b32_e32 v14, 0
	s_mov_b64 s[6:7], s[26:27]
	s_branch .LBB66_14
.LBB66_12:                              ;   in Loop: Header=BB66_14 Depth=2
	s_or_b64 exec, exec, s[36:37]
.LBB66_13:                              ;   in Loop: Header=BB66_14 Depth=2
	s_or_b64 exec, exec, s[34:35]
	s_add_u32 s6, s6, 1
	v_mov_b32_e32 v6, s19
	v_add_co_u32_e32 v4, vcc, s21, v4
	s_addc_u32 s7, s7, 0
	v_addc_co_u32_e32 v5, vcc, v5, v6, vcc
	v_pk_mov_b32 v[6:7], s[10:11], s[10:11] op_sel:[0,1]
	v_cmp_ge_i64_e32 vcc, s[6:7], v[6:7]
	s_cbranch_vccnz .LBB66_21
.LBB66_14:                              ;   Parent Loop BB66_10 Depth=1
                                        ; =>  This Loop Header: Depth=2
                                        ;       Child Loop BB66_17 Depth 3
	s_and_saveexec_b64 s[34:35], s[0:1]
	s_cbranch_execz .LBB66_13
; %bb.15:                               ;   in Loop: Header=BB66_14 Depth=2
	s_lshl_b64 s[36:37], s[6:7], 2
	s_add_u32 s36, s12, s36
	s_addc_u32 s37, s13, s37
	s_load_dword s36, s[36:37], 0x0
	s_mul_i32 s37, s19, s6
	s_mul_i32 s38, s21, s7
	v_mov_b32_e32 v6, s6
	s_add_i32 s38, s38, s37
	s_waitcnt lgkmcnt(0)
	s_sub_i32 s39, s36, s16
	v_mad_u64_u32 v[6:7], s[36:37], s21, v6, v[2:3]
	v_add_u32_e32 v7, s38, v7
	s_mul_i32 s43, s39, s17
	s_mov_b64 s[36:37], 0
	v_mov_b32_e32 v15, v13
	v_pk_mov_b32 v[8:9], v[0:1], v[0:1] op_sel:[0,1]
	s_branch .LBB66_17
.LBB66_16:                              ;   in Loop: Header=BB66_17 Depth=3
	v_lshlrev_b64 v[10:11], 1, v[10:11]
	v_mov_b32_e32 v16, s15
	v_add_co_u32_e32 v10, vcc, s14, v10
	v_addc_co_u32_e32 v11, vcc, v16, v11, vcc
	global_load_ushort v16, v[10:11], off
	v_add_u32_e32 v10, s43, v8
	v_ashrrev_i32_e32 v11, 31, v10
	v_lshlrev_b64 v[10:11], 1, v[10:11]
	v_mov_b32_e32 v17, s23
	v_add_co_u32_e32 v10, vcc, s22, v10
	v_addc_co_u32_e32 v11, vcc, v17, v11, vcc
	global_load_ushort v10, v[10:11], off
	v_add_co_u32_e32 v8, vcc, 8, v8
	v_addc_co_u32_e32 v9, vcc, 0, v9, vcc
	v_cmp_le_i32_e32 vcc, s17, v8
	s_or_b64 s[36:37], vcc, s[36:37]
	v_add_u32_e32 v15, s42, v15
	s_waitcnt vmcnt(1)
	v_lshlrev_b32_e32 v11, 16, v16
	s_waitcnt vmcnt(0)
	v_lshlrev_b32_e32 v10, 16, v10
	v_fmac_f32_e32 v14, v11, v10
	s_andn2_b64 exec, exec, s[36:37]
	s_cbranch_execz .LBB66_12
.LBB66_17:                              ;   Parent Loop BB66_10 Depth=1
                                        ;     Parent Loop BB66_14 Depth=2
                                        ; =>    This Inner Loop Header: Depth=3
	s_and_b64 vcc, exec, s[28:29]
	s_cbranch_vccz .LBB66_19
; %bb.18:                               ;   in Loop: Header=BB66_17 Depth=3
	v_ashrrev_i32_e32 v11, 31, v15
	v_add_co_u32_e32 v10, vcc, v6, v15
	v_addc_co_u32_e32 v11, vcc, v7, v11, vcc
	s_cbranch_execnz .LBB66_16
	s_branch .LBB66_20
.LBB66_19:                              ;   in Loop: Header=BB66_17 Depth=3
                                        ; implicit-def: $vgpr10_vgpr11
.LBB66_20:                              ;   in Loop: Header=BB66_17 Depth=3
	v_add_co_u32_e32 v10, vcc, v4, v8
	v_addc_co_u32_e32 v11, vcc, v5, v9, vcc
	s_branch .LBB66_16
.LBB66_21:                              ;   in Loop: Header=BB66_10 Depth=1
	s_nop 0
	v_mov_b32_dpp v3, v14 row_shr:1 row_mask:0xf bank_mask:0xf
	v_add_f32_e32 v3, v14, v3
	s_nop 1
	v_mov_b32_dpp v4, v3 row_shr:2 row_mask:0xf bank_mask:0xf
	v_add_f32_e32 v3, v3, v4
	s_nop 1
	v_mov_b32_dpp v4, v3 row_shr:4 row_mask:0xf bank_mask:0xe
	s_and_saveexec_b64 s[6:7], s[2:3]
	s_cbranch_execz .LBB66_9
; %bb.22:                               ;   in Loop: Header=BB66_10 Depth=1
	v_add_f32_e32 v3, v3, v4
	v_add_u32_e32 v4, s33, v2
	s_and_b64 vcc, exec, s[30:31]
	v_mul_f32_e32 v3, s18, v3
	v_ashrrev_i32_e32 v5, 31, v4
	s_cbranch_vccz .LBB66_24
; %bb.23:                               ;   in Loop: Header=BB66_10 Depth=1
	v_lshlrev_b64 v[6:7], 2, v[4:5]
	v_mov_b32_e32 v8, s9
	v_add_co_u32_e32 v6, vcc, s8, v6
	v_addc_co_u32_e32 v7, vcc, v8, v7, vcc
	global_store_dword v[6:7], v3, off
	s_cbranch_execnz .LBB66_9
	s_branch .LBB66_25
.LBB66_24:                              ;   in Loop: Header=BB66_10 Depth=1
.LBB66_25:                              ;   in Loop: Header=BB66_10 Depth=1
	v_lshlrev_b64 v[4:5], 2, v[4:5]
	v_mov_b32_e32 v6, s9
	v_add_co_u32_e32 v4, vcc, s8, v4
	v_addc_co_u32_e32 v5, vcc, v6, v5, vcc
	global_load_dword v6, v[4:5], off
	s_waitcnt vmcnt(0)
	v_fmac_f32_e32 v3, s20, v6
	global_store_dword v[4:5], v3, off
	s_branch .LBB66_9
.LBB66_26:
	s_endpgm
	.section	.rodata,"a",@progbits
	.p2align	6, 0x0
	.amdhsa_kernel _ZN9rocsparseL22bsrxmvn_general_kernelILj64ELj8Efli18rocsparse_bfloat16S1_fEEv20rocsparse_direction_NS_24const_host_device_scalarIT1_EET3_PKS6_PKT2_SB_S8_PKT4_S6_PKT5_S5_PT6_21rocsparse_index_base_b
		.amdhsa_group_segment_fixed_size 0
		.amdhsa_private_segment_fixed_size 0
		.amdhsa_kernarg_size 104
		.amdhsa_user_sgpr_count 6
		.amdhsa_user_sgpr_private_segment_buffer 1
		.amdhsa_user_sgpr_dispatch_ptr 0
		.amdhsa_user_sgpr_queue_ptr 0
		.amdhsa_user_sgpr_kernarg_segment_ptr 1
		.amdhsa_user_sgpr_dispatch_id 0
		.amdhsa_user_sgpr_flat_scratch_init 0
		.amdhsa_user_sgpr_kernarg_preload_length 0
		.amdhsa_user_sgpr_kernarg_preload_offset 0
		.amdhsa_user_sgpr_private_segment_size 0
		.amdhsa_uses_dynamic_stack 0
		.amdhsa_system_sgpr_private_segment_wavefront_offset 0
		.amdhsa_system_sgpr_workgroup_id_x 1
		.amdhsa_system_sgpr_workgroup_id_y 0
		.amdhsa_system_sgpr_workgroup_id_z 0
		.amdhsa_system_sgpr_workgroup_info 0
		.amdhsa_system_vgpr_workitem_id 0
		.amdhsa_next_free_vgpr 18
		.amdhsa_next_free_sgpr 44
		.amdhsa_accum_offset 20
		.amdhsa_reserve_vcc 1
		.amdhsa_reserve_flat_scratch 0
		.amdhsa_float_round_mode_32 0
		.amdhsa_float_round_mode_16_64 0
		.amdhsa_float_denorm_mode_32 3
		.amdhsa_float_denorm_mode_16_64 3
		.amdhsa_dx10_clamp 1
		.amdhsa_ieee_mode 1
		.amdhsa_fp16_overflow 0
		.amdhsa_tg_split 0
		.amdhsa_exception_fp_ieee_invalid_op 0
		.amdhsa_exception_fp_denorm_src 0
		.amdhsa_exception_fp_ieee_div_zero 0
		.amdhsa_exception_fp_ieee_overflow 0
		.amdhsa_exception_fp_ieee_underflow 0
		.amdhsa_exception_fp_ieee_inexact 0
		.amdhsa_exception_int_div_zero 0
	.end_amdhsa_kernel
	.section	.text._ZN9rocsparseL22bsrxmvn_general_kernelILj64ELj8Efli18rocsparse_bfloat16S1_fEEv20rocsparse_direction_NS_24const_host_device_scalarIT1_EET3_PKS6_PKT2_SB_S8_PKT4_S6_PKT5_S5_PT6_21rocsparse_index_base_b,"axG",@progbits,_ZN9rocsparseL22bsrxmvn_general_kernelILj64ELj8Efli18rocsparse_bfloat16S1_fEEv20rocsparse_direction_NS_24const_host_device_scalarIT1_EET3_PKS6_PKT2_SB_S8_PKT4_S6_PKT5_S5_PT6_21rocsparse_index_base_b,comdat
.Lfunc_end66:
	.size	_ZN9rocsparseL22bsrxmvn_general_kernelILj64ELj8Efli18rocsparse_bfloat16S1_fEEv20rocsparse_direction_NS_24const_host_device_scalarIT1_EET3_PKS6_PKT2_SB_S8_PKT4_S6_PKT5_S5_PT6_21rocsparse_index_base_b, .Lfunc_end66-_ZN9rocsparseL22bsrxmvn_general_kernelILj64ELj8Efli18rocsparse_bfloat16S1_fEEv20rocsparse_direction_NS_24const_host_device_scalarIT1_EET3_PKS6_PKT2_SB_S8_PKT4_S6_PKT5_S5_PT6_21rocsparse_index_base_b
                                        ; -- End function
	.section	.AMDGPU.csdata,"",@progbits
; Kernel info:
; codeLenInByte = 956
; NumSgprs: 48
; NumVgprs: 18
; NumAgprs: 0
; TotalNumVgprs: 18
; ScratchSize: 0
; MemoryBound: 0
; FloatMode: 240
; IeeeMode: 1
; LDSByteSize: 0 bytes/workgroup (compile time only)
; SGPRBlocks: 5
; VGPRBlocks: 2
; NumSGPRsForWavesPerEU: 48
; NumVGPRsForWavesPerEU: 18
; AccumOffset: 20
; Occupancy: 8
; WaveLimiterHint : 1
; COMPUTE_PGM_RSRC2:SCRATCH_EN: 0
; COMPUTE_PGM_RSRC2:USER_SGPR: 6
; COMPUTE_PGM_RSRC2:TRAP_HANDLER: 0
; COMPUTE_PGM_RSRC2:TGID_X_EN: 1
; COMPUTE_PGM_RSRC2:TGID_Y_EN: 0
; COMPUTE_PGM_RSRC2:TGID_Z_EN: 0
; COMPUTE_PGM_RSRC2:TIDIG_COMP_CNT: 0
; COMPUTE_PGM_RSRC3_GFX90A:ACCUM_OFFSET: 4
; COMPUTE_PGM_RSRC3_GFX90A:TG_SPLIT: 0
	.section	.text._ZN9rocsparseL22bsrxmvn_general_kernelILj256ELj16Efli18rocsparse_bfloat16S1_fEEv20rocsparse_direction_NS_24const_host_device_scalarIT1_EET3_PKS6_PKT2_SB_S8_PKT4_S6_PKT5_S5_PT6_21rocsparse_index_base_b,"axG",@progbits,_ZN9rocsparseL22bsrxmvn_general_kernelILj256ELj16Efli18rocsparse_bfloat16S1_fEEv20rocsparse_direction_NS_24const_host_device_scalarIT1_EET3_PKS6_PKT2_SB_S8_PKT4_S6_PKT5_S5_PT6_21rocsparse_index_base_b,comdat
	.globl	_ZN9rocsparseL22bsrxmvn_general_kernelILj256ELj16Efli18rocsparse_bfloat16S1_fEEv20rocsparse_direction_NS_24const_host_device_scalarIT1_EET3_PKS6_PKT2_SB_S8_PKT4_S6_PKT5_S5_PT6_21rocsparse_index_base_b ; -- Begin function _ZN9rocsparseL22bsrxmvn_general_kernelILj256ELj16Efli18rocsparse_bfloat16S1_fEEv20rocsparse_direction_NS_24const_host_device_scalarIT1_EET3_PKS6_PKT2_SB_S8_PKT4_S6_PKT5_S5_PT6_21rocsparse_index_base_b
	.p2align	8
	.type	_ZN9rocsparseL22bsrxmvn_general_kernelILj256ELj16Efli18rocsparse_bfloat16S1_fEEv20rocsparse_direction_NS_24const_host_device_scalarIT1_EET3_PKS6_PKT2_SB_S8_PKT4_S6_PKT5_S5_PT6_21rocsparse_index_base_b,@function
_ZN9rocsparseL22bsrxmvn_general_kernelILj256ELj16Efli18rocsparse_bfloat16S1_fEEv20rocsparse_direction_NS_24const_host_device_scalarIT1_EET3_PKS6_PKT2_SB_S8_PKT4_S6_PKT5_S5_PT6_21rocsparse_index_base_b: ; @_ZN9rocsparseL22bsrxmvn_general_kernelILj256ELj16Efli18rocsparse_bfloat16S1_fEEv20rocsparse_direction_NS_24const_host_device_scalarIT1_EET3_PKS6_PKT2_SB_S8_PKT4_S6_PKT5_S5_PT6_21rocsparse_index_base_b
; %bb.0:
	s_load_dwordx2 s[16:17], s[4:5], 0x60
	s_load_dwordx2 s[18:19], s[4:5], 0x8
	;; [unrolled: 1-line block ×3, first 2 shown]
	s_waitcnt lgkmcnt(0)
	s_bitcmp1_b32 s17, 0
	s_cselect_b64 s[2:3], -1, 0
	s_xor_b64 s[0:1], s[2:3], -1
	s_and_b64 vcc, exec, s[2:3]
	s_cbranch_vccnz .LBB67_2
; %bb.1:
	s_load_dword s18, s[18:19], 0x0
.LBB67_2:
	s_andn2_b64 vcc, exec, s[0:1]
	s_cbranch_vccnz .LBB67_4
; %bb.3:
	s_load_dword s20, s[20:21], 0x0
.LBB67_4:
	s_waitcnt lgkmcnt(0)
	v_cmp_neq_f32_e64 s[0:1], s18, 0
	v_cmp_neq_f32_e64 s[2:3], s20, 1.0
	s_or_b64 s[0:1], s[0:1], s[2:3]
	s_andn2_b64 vcc, exec, s[0:1]
	s_cbranch_vccnz .LBB67_26
; %bb.5:
	s_load_dwordx2 s[0:1], s[4:5], 0x18
	s_waitcnt lgkmcnt(0)
	s_cmp_eq_u64 s[0:1], 0
	s_cbranch_scc1 .LBB67_7
; %bb.6:
	s_ashr_i32 s7, s6, 31
	s_lshl_b64 s[2:3], s[6:7], 2
	s_add_u32 s0, s0, s2
	s_addc_u32 s1, s1, s3
	s_load_dword s0, s[0:1], 0x0
	s_waitcnt lgkmcnt(0)
	s_sub_i32 s6, s0, s16
.LBB67_7:
	s_load_dword s17, s[4:5], 0x40
	v_lshrrev_b32_e32 v2, 4, v0
	s_waitcnt lgkmcnt(0)
	v_cmp_gt_i32_e32 vcc, s17, v2
	s_and_saveexec_b64 s[0:1], vcc
	s_cbranch_execz .LBB67_26
; %bb.8:
	s_load_dwordx8 s[8:15], s[4:5], 0x20
	s_ashr_i32 s7, s6, 31
	s_lshl_b64 s[0:1], s[6:7], 3
	s_mul_hi_u32 s19, s17, s17
	s_mul_i32 s21, s17, s17
	s_waitcnt lgkmcnt(0)
	s_add_u32 s2, s8, s0
	s_addc_u32 s3, s9, s1
	s_load_dwordx2 s[34:35], s[2:3], 0x0
	s_load_dwordx2 s[8:9], s[4:5], 0x58
	;; [unrolled: 1-line block ×3, first 2 shown]
	v_and_b32_e32 v0, 15, v0
	s_mov_b64 s[24:25], 0
	s_waitcnt lgkmcnt(0)
	s_sub_u32 s26, s34, s16
	s_subb_u32 s27, s35, 0
	s_add_u32 s2, s2, 8
	s_addc_u32 s3, s3, 0
	s_add_u32 s0, s10, s0
	s_addc_u32 s1, s11, s1
	s_cmp_eq_u64 s[10:11], 0
	s_cselect_b32 s1, s3, s1
	s_cselect_b32 s0, s2, s0
	s_load_dwordx2 s[2:3], s[0:1], 0x0
	s_load_dword s7, s[4:5], 0x0
	s_mul_i32 s4, s26, s19
	s_mul_hi_u32 s5, s26, s21
	v_cmp_gt_u32_e64 s[0:1], s17, v0
	s_waitcnt lgkmcnt(0)
	s_sub_u32 s10, s2, s16
	v_pk_mov_b32 v[4:5], s[2:3], s[2:3] op_sel:[0,1]
	s_subb_u32 s11, s3, 0
	s_cmp_lg_u32 s7, 0
	v_cmp_lt_i64_e32 vcc, s[34:35], v[4:5]
	s_cselect_b64 s[28:29], -1, 0
	s_add_i32 s4, s5, s4
	s_mul_i32 s5, s27, s21
	v_cndmask_b32_e64 v3, 0, 1, vcc
	v_cmp_eq_u32_e64 s[2:3], 15, v0
	v_cmp_eq_f32_e64 s[30:31], s20, 0
	s_mul_i32 s33, s6, s17
	s_add_i32 s40, s4, s5
	s_mul_i32 s41, s26, s21
	v_mul_lo_u32 v12, s17, v2
	s_lshl_b32 s42, s17, 4
	v_mov_b32_e32 v1, 0
	v_mul_lo_u32 v13, s17, v0
	v_cmp_ne_u32_e64 s[4:5], 1, v3
	s_branch .LBB67_10
.LBB67_9:                               ;   in Loop: Header=BB67_10 Depth=1
	s_or_b64 exec, exec, s[6:7]
	v_add_u32_e32 v2, 16, v2
	v_cmp_le_i32_e32 vcc, s17, v2
	s_or_b64 s[24:25], vcc, s[24:25]
	v_add_u32_e32 v12, s42, v12
	s_andn2_b64 exec, exec, s[24:25]
	s_cbranch_execz .LBB67_26
.LBB67_10:                              ; =>This Loop Header: Depth=1
                                        ;     Child Loop BB67_14 Depth 2
                                        ;       Child Loop BB67_17 Depth 3
	s_and_b64 vcc, exec, s[4:5]
	v_mov_b32_e32 v14, 0
	s_cbranch_vccnz .LBB67_21
; %bb.11:                               ;   in Loop: Header=BB67_10 Depth=1
	v_ashrrev_i32_e32 v3, 31, v12
	v_mov_b32_e32 v5, s40
	v_add_co_u32_e32 v4, vcc, s41, v12
	v_addc_co_u32_e32 v5, vcc, v5, v3, vcc
	v_ashrrev_i32_e32 v3, 31, v2
	v_mov_b32_e32 v14, 0
	s_mov_b64 s[6:7], s[26:27]
	s_branch .LBB67_14
.LBB67_12:                              ;   in Loop: Header=BB67_14 Depth=2
	s_or_b64 exec, exec, s[36:37]
.LBB67_13:                              ;   in Loop: Header=BB67_14 Depth=2
	s_or_b64 exec, exec, s[34:35]
	s_add_u32 s6, s6, 1
	v_mov_b32_e32 v6, s19
	v_add_co_u32_e32 v4, vcc, s21, v4
	s_addc_u32 s7, s7, 0
	v_addc_co_u32_e32 v5, vcc, v5, v6, vcc
	v_pk_mov_b32 v[6:7], s[10:11], s[10:11] op_sel:[0,1]
	v_cmp_ge_i64_e32 vcc, s[6:7], v[6:7]
	s_cbranch_vccnz .LBB67_21
.LBB67_14:                              ;   Parent Loop BB67_10 Depth=1
                                        ; =>  This Loop Header: Depth=2
                                        ;       Child Loop BB67_17 Depth 3
	s_and_saveexec_b64 s[34:35], s[0:1]
	s_cbranch_execz .LBB67_13
; %bb.15:                               ;   in Loop: Header=BB67_14 Depth=2
	s_lshl_b64 s[36:37], s[6:7], 2
	s_add_u32 s36, s12, s36
	s_addc_u32 s37, s13, s37
	s_load_dword s36, s[36:37], 0x0
	s_mul_i32 s37, s19, s6
	s_mul_i32 s38, s21, s7
	v_mov_b32_e32 v6, s6
	s_add_i32 s38, s38, s37
	s_waitcnt lgkmcnt(0)
	s_sub_i32 s39, s36, s16
	v_mad_u64_u32 v[6:7], s[36:37], s21, v6, v[2:3]
	v_add_u32_e32 v7, s38, v7
	s_mul_i32 s43, s39, s17
	s_mov_b64 s[36:37], 0
	v_mov_b32_e32 v15, v13
	v_pk_mov_b32 v[8:9], v[0:1], v[0:1] op_sel:[0,1]
	s_branch .LBB67_17
.LBB67_16:                              ;   in Loop: Header=BB67_17 Depth=3
	v_lshlrev_b64 v[10:11], 1, v[10:11]
	v_mov_b32_e32 v16, s15
	v_add_co_u32_e32 v10, vcc, s14, v10
	v_addc_co_u32_e32 v11, vcc, v16, v11, vcc
	global_load_ushort v16, v[10:11], off
	v_add_u32_e32 v10, s43, v8
	v_ashrrev_i32_e32 v11, 31, v10
	v_lshlrev_b64 v[10:11], 1, v[10:11]
	v_mov_b32_e32 v17, s23
	v_add_co_u32_e32 v10, vcc, s22, v10
	v_addc_co_u32_e32 v11, vcc, v17, v11, vcc
	global_load_ushort v10, v[10:11], off
	v_add_co_u32_e32 v8, vcc, 16, v8
	v_addc_co_u32_e32 v9, vcc, 0, v9, vcc
	v_cmp_le_i32_e32 vcc, s17, v8
	s_or_b64 s[36:37], vcc, s[36:37]
	v_add_u32_e32 v15, s42, v15
	s_waitcnt vmcnt(1)
	v_lshlrev_b32_e32 v11, 16, v16
	s_waitcnt vmcnt(0)
	v_lshlrev_b32_e32 v10, 16, v10
	v_fmac_f32_e32 v14, v11, v10
	s_andn2_b64 exec, exec, s[36:37]
	s_cbranch_execz .LBB67_12
.LBB67_17:                              ;   Parent Loop BB67_10 Depth=1
                                        ;     Parent Loop BB67_14 Depth=2
                                        ; =>    This Inner Loop Header: Depth=3
	s_and_b64 vcc, exec, s[28:29]
	s_cbranch_vccz .LBB67_19
; %bb.18:                               ;   in Loop: Header=BB67_17 Depth=3
	v_ashrrev_i32_e32 v11, 31, v15
	v_add_co_u32_e32 v10, vcc, v6, v15
	v_addc_co_u32_e32 v11, vcc, v7, v11, vcc
	s_cbranch_execnz .LBB67_16
	s_branch .LBB67_20
.LBB67_19:                              ;   in Loop: Header=BB67_17 Depth=3
                                        ; implicit-def: $vgpr10_vgpr11
.LBB67_20:                              ;   in Loop: Header=BB67_17 Depth=3
	v_add_co_u32_e32 v10, vcc, v4, v8
	v_addc_co_u32_e32 v11, vcc, v5, v9, vcc
	s_branch .LBB67_16
.LBB67_21:                              ;   in Loop: Header=BB67_10 Depth=1
	s_nop 0
	v_mov_b32_dpp v3, v14 row_shr:1 row_mask:0xf bank_mask:0xf
	v_add_f32_e32 v3, v14, v3
	s_nop 1
	v_mov_b32_dpp v4, v3 row_shr:2 row_mask:0xf bank_mask:0xf
	v_add_f32_e32 v3, v3, v4
	;; [unrolled: 3-line block ×3, first 2 shown]
	s_nop 1
	v_mov_b32_dpp v4, v3 row_shr:8 row_mask:0xf bank_mask:0xc
	s_and_saveexec_b64 s[6:7], s[2:3]
	s_cbranch_execz .LBB67_9
; %bb.22:                               ;   in Loop: Header=BB67_10 Depth=1
	v_add_f32_e32 v3, v3, v4
	v_add_u32_e32 v4, s33, v2
	s_and_b64 vcc, exec, s[30:31]
	v_mul_f32_e32 v3, s18, v3
	v_ashrrev_i32_e32 v5, 31, v4
	s_cbranch_vccz .LBB67_24
; %bb.23:                               ;   in Loop: Header=BB67_10 Depth=1
	v_lshlrev_b64 v[6:7], 2, v[4:5]
	v_mov_b32_e32 v8, s9
	v_add_co_u32_e32 v6, vcc, s8, v6
	v_addc_co_u32_e32 v7, vcc, v8, v7, vcc
	global_store_dword v[6:7], v3, off
	s_cbranch_execnz .LBB67_9
	s_branch .LBB67_25
.LBB67_24:                              ;   in Loop: Header=BB67_10 Depth=1
.LBB67_25:                              ;   in Loop: Header=BB67_10 Depth=1
	v_lshlrev_b64 v[4:5], 2, v[4:5]
	v_mov_b32_e32 v6, s9
	v_add_co_u32_e32 v4, vcc, s8, v4
	v_addc_co_u32_e32 v5, vcc, v6, v5, vcc
	global_load_dword v6, v[4:5], off
	s_waitcnt vmcnt(0)
	v_fmac_f32_e32 v3, s20, v6
	global_store_dword v[4:5], v3, off
	s_branch .LBB67_9
.LBB67_26:
	s_endpgm
	.section	.rodata,"a",@progbits
	.p2align	6, 0x0
	.amdhsa_kernel _ZN9rocsparseL22bsrxmvn_general_kernelILj256ELj16Efli18rocsparse_bfloat16S1_fEEv20rocsparse_direction_NS_24const_host_device_scalarIT1_EET3_PKS6_PKT2_SB_S8_PKT4_S6_PKT5_S5_PT6_21rocsparse_index_base_b
		.amdhsa_group_segment_fixed_size 0
		.amdhsa_private_segment_fixed_size 0
		.amdhsa_kernarg_size 104
		.amdhsa_user_sgpr_count 6
		.amdhsa_user_sgpr_private_segment_buffer 1
		.amdhsa_user_sgpr_dispatch_ptr 0
		.amdhsa_user_sgpr_queue_ptr 0
		.amdhsa_user_sgpr_kernarg_segment_ptr 1
		.amdhsa_user_sgpr_dispatch_id 0
		.amdhsa_user_sgpr_flat_scratch_init 0
		.amdhsa_user_sgpr_kernarg_preload_length 0
		.amdhsa_user_sgpr_kernarg_preload_offset 0
		.amdhsa_user_sgpr_private_segment_size 0
		.amdhsa_uses_dynamic_stack 0
		.amdhsa_system_sgpr_private_segment_wavefront_offset 0
		.amdhsa_system_sgpr_workgroup_id_x 1
		.amdhsa_system_sgpr_workgroup_id_y 0
		.amdhsa_system_sgpr_workgroup_id_z 0
		.amdhsa_system_sgpr_workgroup_info 0
		.amdhsa_system_vgpr_workitem_id 0
		.amdhsa_next_free_vgpr 18
		.amdhsa_next_free_sgpr 44
		.amdhsa_accum_offset 20
		.amdhsa_reserve_vcc 1
		.amdhsa_reserve_flat_scratch 0
		.amdhsa_float_round_mode_32 0
		.amdhsa_float_round_mode_16_64 0
		.amdhsa_float_denorm_mode_32 3
		.amdhsa_float_denorm_mode_16_64 3
		.amdhsa_dx10_clamp 1
		.amdhsa_ieee_mode 1
		.amdhsa_fp16_overflow 0
		.amdhsa_tg_split 0
		.amdhsa_exception_fp_ieee_invalid_op 0
		.amdhsa_exception_fp_denorm_src 0
		.amdhsa_exception_fp_ieee_div_zero 0
		.amdhsa_exception_fp_ieee_overflow 0
		.amdhsa_exception_fp_ieee_underflow 0
		.amdhsa_exception_fp_ieee_inexact 0
		.amdhsa_exception_int_div_zero 0
	.end_amdhsa_kernel
	.section	.text._ZN9rocsparseL22bsrxmvn_general_kernelILj256ELj16Efli18rocsparse_bfloat16S1_fEEv20rocsparse_direction_NS_24const_host_device_scalarIT1_EET3_PKS6_PKT2_SB_S8_PKT4_S6_PKT5_S5_PT6_21rocsparse_index_base_b,"axG",@progbits,_ZN9rocsparseL22bsrxmvn_general_kernelILj256ELj16Efli18rocsparse_bfloat16S1_fEEv20rocsparse_direction_NS_24const_host_device_scalarIT1_EET3_PKS6_PKT2_SB_S8_PKT4_S6_PKT5_S5_PT6_21rocsparse_index_base_b,comdat
.Lfunc_end67:
	.size	_ZN9rocsparseL22bsrxmvn_general_kernelILj256ELj16Efli18rocsparse_bfloat16S1_fEEv20rocsparse_direction_NS_24const_host_device_scalarIT1_EET3_PKS6_PKT2_SB_S8_PKT4_S6_PKT5_S5_PT6_21rocsparse_index_base_b, .Lfunc_end67-_ZN9rocsparseL22bsrxmvn_general_kernelILj256ELj16Efli18rocsparse_bfloat16S1_fEEv20rocsparse_direction_NS_24const_host_device_scalarIT1_EET3_PKS6_PKT2_SB_S8_PKT4_S6_PKT5_S5_PT6_21rocsparse_index_base_b
                                        ; -- End function
	.section	.AMDGPU.csdata,"",@progbits
; Kernel info:
; codeLenInByte = 972
; NumSgprs: 48
; NumVgprs: 18
; NumAgprs: 0
; TotalNumVgprs: 18
; ScratchSize: 0
; MemoryBound: 0
; FloatMode: 240
; IeeeMode: 1
; LDSByteSize: 0 bytes/workgroup (compile time only)
; SGPRBlocks: 5
; VGPRBlocks: 2
; NumSGPRsForWavesPerEU: 48
; NumVGPRsForWavesPerEU: 18
; AccumOffset: 20
; Occupancy: 8
; WaveLimiterHint : 1
; COMPUTE_PGM_RSRC2:SCRATCH_EN: 0
; COMPUTE_PGM_RSRC2:USER_SGPR: 6
; COMPUTE_PGM_RSRC2:TRAP_HANDLER: 0
; COMPUTE_PGM_RSRC2:TGID_X_EN: 1
; COMPUTE_PGM_RSRC2:TGID_Y_EN: 0
; COMPUTE_PGM_RSRC2:TGID_Z_EN: 0
; COMPUTE_PGM_RSRC2:TIDIG_COMP_CNT: 0
; COMPUTE_PGM_RSRC3_GFX90A:ACCUM_OFFSET: 4
; COMPUTE_PGM_RSRC3_GFX90A:TG_SPLIT: 0
	.section	.text._ZN9rocsparseL22bsrxmvn_general_kernelILj1024ELj32Efli18rocsparse_bfloat16S1_fEEv20rocsparse_direction_NS_24const_host_device_scalarIT1_EET3_PKS6_PKT2_SB_S8_PKT4_S6_PKT5_S5_PT6_21rocsparse_index_base_b,"axG",@progbits,_ZN9rocsparseL22bsrxmvn_general_kernelILj1024ELj32Efli18rocsparse_bfloat16S1_fEEv20rocsparse_direction_NS_24const_host_device_scalarIT1_EET3_PKS6_PKT2_SB_S8_PKT4_S6_PKT5_S5_PT6_21rocsparse_index_base_b,comdat
	.globl	_ZN9rocsparseL22bsrxmvn_general_kernelILj1024ELj32Efli18rocsparse_bfloat16S1_fEEv20rocsparse_direction_NS_24const_host_device_scalarIT1_EET3_PKS6_PKT2_SB_S8_PKT4_S6_PKT5_S5_PT6_21rocsparse_index_base_b ; -- Begin function _ZN9rocsparseL22bsrxmvn_general_kernelILj1024ELj32Efli18rocsparse_bfloat16S1_fEEv20rocsparse_direction_NS_24const_host_device_scalarIT1_EET3_PKS6_PKT2_SB_S8_PKT4_S6_PKT5_S5_PT6_21rocsparse_index_base_b
	.p2align	8
	.type	_ZN9rocsparseL22bsrxmvn_general_kernelILj1024ELj32Efli18rocsparse_bfloat16S1_fEEv20rocsparse_direction_NS_24const_host_device_scalarIT1_EET3_PKS6_PKT2_SB_S8_PKT4_S6_PKT5_S5_PT6_21rocsparse_index_base_b,@function
_ZN9rocsparseL22bsrxmvn_general_kernelILj1024ELj32Efli18rocsparse_bfloat16S1_fEEv20rocsparse_direction_NS_24const_host_device_scalarIT1_EET3_PKS6_PKT2_SB_S8_PKT4_S6_PKT5_S5_PT6_21rocsparse_index_base_b: ; @_ZN9rocsparseL22bsrxmvn_general_kernelILj1024ELj32Efli18rocsparse_bfloat16S1_fEEv20rocsparse_direction_NS_24const_host_device_scalarIT1_EET3_PKS6_PKT2_SB_S8_PKT4_S6_PKT5_S5_PT6_21rocsparse_index_base_b
; %bb.0:
	s_load_dwordx2 s[16:17], s[4:5], 0x60
	s_load_dwordx2 s[18:19], s[4:5], 0x8
	s_load_dwordx2 s[20:21], s[4:5], 0x50
	s_waitcnt lgkmcnt(0)
	s_bitcmp1_b32 s17, 0
	s_cselect_b64 s[2:3], -1, 0
	s_xor_b64 s[0:1], s[2:3], -1
	s_and_b64 vcc, exec, s[2:3]
	s_cbranch_vccnz .LBB68_2
; %bb.1:
	s_load_dword s18, s[18:19], 0x0
.LBB68_2:
	s_andn2_b64 vcc, exec, s[0:1]
	s_cbranch_vccnz .LBB68_4
; %bb.3:
	s_load_dword s20, s[20:21], 0x0
.LBB68_4:
	s_waitcnt lgkmcnt(0)
	v_cmp_neq_f32_e64 s[0:1], s18, 0
	v_cmp_neq_f32_e64 s[2:3], s20, 1.0
	s_or_b64 s[0:1], s[0:1], s[2:3]
	s_andn2_b64 vcc, exec, s[0:1]
	s_cbranch_vccnz .LBB68_26
; %bb.5:
	s_load_dwordx2 s[0:1], s[4:5], 0x18
	s_waitcnt lgkmcnt(0)
	s_cmp_eq_u64 s[0:1], 0
	s_cbranch_scc1 .LBB68_7
; %bb.6:
	s_ashr_i32 s7, s6, 31
	s_lshl_b64 s[2:3], s[6:7], 2
	s_add_u32 s0, s0, s2
	s_addc_u32 s1, s1, s3
	s_load_dword s0, s[0:1], 0x0
	s_waitcnt lgkmcnt(0)
	s_sub_i32 s6, s0, s16
.LBB68_7:
	s_load_dword s17, s[4:5], 0x40
	v_lshrrev_b32_e32 v2, 5, v0
	s_waitcnt lgkmcnt(0)
	v_cmp_gt_i32_e32 vcc, s17, v2
	s_and_saveexec_b64 s[0:1], vcc
	s_cbranch_execz .LBB68_26
; %bb.8:
	s_load_dwordx8 s[8:15], s[4:5], 0x20
	s_ashr_i32 s7, s6, 31
	s_lshl_b64 s[0:1], s[6:7], 3
	s_mul_hi_u32 s19, s17, s17
	s_mul_i32 s21, s17, s17
	s_waitcnt lgkmcnt(0)
	s_add_u32 s2, s8, s0
	s_addc_u32 s3, s9, s1
	s_load_dwordx2 s[34:35], s[2:3], 0x0
	s_load_dwordx2 s[8:9], s[4:5], 0x58
	;; [unrolled: 1-line block ×3, first 2 shown]
	v_and_b32_e32 v0, 31, v0
	v_mov_b32_e32 v3, 0
	s_waitcnt lgkmcnt(0)
	s_sub_u32 s26, s34, s16
	s_subb_u32 s27, s35, 0
	s_add_u32 s2, s2, 8
	s_addc_u32 s3, s3, 0
	s_add_u32 s0, s10, s0
	s_addc_u32 s1, s11, s1
	s_cmp_eq_u64 s[10:11], 0
	s_cselect_b32 s1, s3, s1
	s_cselect_b32 s0, s2, s0
	s_load_dwordx2 s[2:3], s[0:1], 0x0
	s_load_dword s7, s[4:5], 0x0
	s_mul_i32 s4, s26, s19
	s_mul_hi_u32 s5, s26, s21
	s_mov_b64 s[24:25], 0
	s_waitcnt lgkmcnt(0)
	s_sub_u32 s10, s2, s16
	v_pk_mov_b32 v[4:5], s[2:3], s[2:3] op_sel:[0,1]
	s_subb_u32 s11, s3, 0
	s_cmp_lg_u32 s7, 0
	v_cmp_lt_i64_e32 vcc, s[34:35], v[4:5]
	s_cselect_b64 s[28:29], -1, 0
	s_add_i32 s4, s5, s4
	s_mul_i32 s5, s27, s21
	v_cndmask_b32_e64 v4, 0, 1, vcc
	v_cmp_gt_u32_e64 s[0:1], s17, v0
	v_cmp_eq_u32_e64 s[2:3], 31, v0
	v_cmp_eq_f32_e64 s[30:31], s20, 0
	s_mul_i32 s33, s6, s17
	s_add_i32 s40, s4, s5
	s_mul_i32 s41, s26, s21
	v_mul_lo_u32 v12, s17, v2
	s_lshl_b32 s42, s17, 5
	v_mov_b32_e32 v1, v3
	v_mul_lo_u32 v13, s17, v0
	v_cmp_ne_u32_e64 s[4:5], 1, v4
	s_branch .LBB68_10
.LBB68_9:                               ;   in Loop: Header=BB68_10 Depth=1
	s_or_b64 exec, exec, s[6:7]
	v_add_u32_e32 v2, 32, v2
	v_cmp_le_i32_e32 vcc, s17, v2
	s_or_b64 s[24:25], vcc, s[24:25]
	v_add_u32_e32 v12, s42, v12
	s_andn2_b64 exec, exec, s[24:25]
	s_cbranch_execz .LBB68_26
.LBB68_10:                              ; =>This Loop Header: Depth=1
                                        ;     Child Loop BB68_14 Depth 2
                                        ;       Child Loop BB68_17 Depth 3
	s_and_b64 vcc, exec, s[4:5]
	v_mov_b32_e32 v14, 0
	s_cbranch_vccnz .LBB68_21
; %bb.11:                               ;   in Loop: Header=BB68_10 Depth=1
	v_ashrrev_i32_e32 v5, 31, v12
	v_mov_b32_e32 v6, s40
	v_add_co_u32_e32 v4, vcc, s41, v12
	v_addc_co_u32_e32 v5, vcc, v6, v5, vcc
	v_mov_b32_e32 v14, 0
	s_mov_b64 s[6:7], s[26:27]
	s_branch .LBB68_14
.LBB68_12:                              ;   in Loop: Header=BB68_14 Depth=2
	s_or_b64 exec, exec, s[36:37]
.LBB68_13:                              ;   in Loop: Header=BB68_14 Depth=2
	s_or_b64 exec, exec, s[34:35]
	s_add_u32 s6, s6, 1
	v_mov_b32_e32 v6, s19
	v_add_co_u32_e32 v4, vcc, s21, v4
	s_addc_u32 s7, s7, 0
	v_addc_co_u32_e32 v5, vcc, v5, v6, vcc
	v_pk_mov_b32 v[6:7], s[10:11], s[10:11] op_sel:[0,1]
	v_cmp_ge_i64_e32 vcc, s[6:7], v[6:7]
	s_cbranch_vccnz .LBB68_21
.LBB68_14:                              ;   Parent Loop BB68_10 Depth=1
                                        ; =>  This Loop Header: Depth=2
                                        ;       Child Loop BB68_17 Depth 3
	s_and_saveexec_b64 s[34:35], s[0:1]
	s_cbranch_execz .LBB68_13
; %bb.15:                               ;   in Loop: Header=BB68_14 Depth=2
	s_lshl_b64 s[36:37], s[6:7], 2
	s_add_u32 s36, s12, s36
	s_addc_u32 s37, s13, s37
	s_load_dword s36, s[36:37], 0x0
	s_mul_i32 s37, s19, s6
	s_mul_i32 s38, s21, s7
	v_mov_b32_e32 v6, s6
	s_add_i32 s38, s38, s37
	s_waitcnt lgkmcnt(0)
	s_sub_i32 s39, s36, s16
	v_mad_u64_u32 v[6:7], s[36:37], s21, v6, v[2:3]
	v_add_u32_e32 v7, s38, v7
	s_mul_i32 s43, s39, s17
	s_mov_b64 s[36:37], 0
	v_mov_b32_e32 v15, v13
	v_pk_mov_b32 v[8:9], v[0:1], v[0:1] op_sel:[0,1]
	s_branch .LBB68_17
.LBB68_16:                              ;   in Loop: Header=BB68_17 Depth=3
	v_lshlrev_b64 v[10:11], 1, v[10:11]
	v_mov_b32_e32 v16, s15
	v_add_co_u32_e32 v10, vcc, s14, v10
	v_addc_co_u32_e32 v11, vcc, v16, v11, vcc
	global_load_ushort v16, v[10:11], off
	v_add_u32_e32 v10, s43, v8
	v_ashrrev_i32_e32 v11, 31, v10
	v_lshlrev_b64 v[10:11], 1, v[10:11]
	v_mov_b32_e32 v17, s23
	v_add_co_u32_e32 v10, vcc, s22, v10
	v_addc_co_u32_e32 v11, vcc, v17, v11, vcc
	global_load_ushort v10, v[10:11], off
	v_add_co_u32_e32 v8, vcc, 32, v8
	v_addc_co_u32_e32 v9, vcc, 0, v9, vcc
	v_cmp_le_i32_e32 vcc, s17, v8
	s_or_b64 s[36:37], vcc, s[36:37]
	v_add_u32_e32 v15, s42, v15
	s_waitcnt vmcnt(1)
	v_lshlrev_b32_e32 v11, 16, v16
	s_waitcnt vmcnt(0)
	v_lshlrev_b32_e32 v10, 16, v10
	v_fmac_f32_e32 v14, v11, v10
	s_andn2_b64 exec, exec, s[36:37]
	s_cbranch_execz .LBB68_12
.LBB68_17:                              ;   Parent Loop BB68_10 Depth=1
                                        ;     Parent Loop BB68_14 Depth=2
                                        ; =>    This Inner Loop Header: Depth=3
	s_and_b64 vcc, exec, s[28:29]
	s_cbranch_vccz .LBB68_19
; %bb.18:                               ;   in Loop: Header=BB68_17 Depth=3
	v_ashrrev_i32_e32 v11, 31, v15
	v_add_co_u32_e32 v10, vcc, v6, v15
	v_addc_co_u32_e32 v11, vcc, v7, v11, vcc
	s_cbranch_execnz .LBB68_16
	s_branch .LBB68_20
.LBB68_19:                              ;   in Loop: Header=BB68_17 Depth=3
                                        ; implicit-def: $vgpr10_vgpr11
.LBB68_20:                              ;   in Loop: Header=BB68_17 Depth=3
	v_add_co_u32_e32 v10, vcc, v4, v8
	v_addc_co_u32_e32 v11, vcc, v5, v9, vcc
	s_branch .LBB68_16
.LBB68_21:                              ;   in Loop: Header=BB68_10 Depth=1
	s_nop 0
	v_mov_b32_dpp v4, v14 row_shr:1 row_mask:0xf bank_mask:0xf
	v_add_f32_e32 v4, v14, v4
	s_nop 1
	v_mov_b32_dpp v5, v4 row_shr:2 row_mask:0xf bank_mask:0xf
	v_add_f32_e32 v4, v4, v5
	;; [unrolled: 3-line block ×4, first 2 shown]
	s_nop 1
	v_mov_b32_dpp v5, v4 row_bcast:15 row_mask:0xa bank_mask:0xf
	s_and_saveexec_b64 s[6:7], s[2:3]
	s_cbranch_execz .LBB68_9
; %bb.22:                               ;   in Loop: Header=BB68_10 Depth=1
	v_add_f32_e32 v4, v4, v5
	v_mul_f32_e32 v6, s18, v4
	v_add_u32_e32 v4, s33, v2
	s_and_b64 vcc, exec, s[30:31]
	v_ashrrev_i32_e32 v5, 31, v4
	s_cbranch_vccz .LBB68_24
; %bb.23:                               ;   in Loop: Header=BB68_10 Depth=1
	v_lshlrev_b64 v[8:9], 2, v[4:5]
	v_mov_b32_e32 v7, s9
	v_add_co_u32_e32 v8, vcc, s8, v8
	v_addc_co_u32_e32 v9, vcc, v7, v9, vcc
	global_store_dword v[8:9], v6, off
	s_cbranch_execnz .LBB68_9
	s_branch .LBB68_25
.LBB68_24:                              ;   in Loop: Header=BB68_10 Depth=1
.LBB68_25:                              ;   in Loop: Header=BB68_10 Depth=1
	v_lshlrev_b64 v[4:5], 2, v[4:5]
	v_mov_b32_e32 v7, s9
	v_add_co_u32_e32 v4, vcc, s8, v4
	v_addc_co_u32_e32 v5, vcc, v7, v5, vcc
	global_load_dword v7, v[4:5], off
	s_waitcnt vmcnt(0)
	v_fmac_f32_e32 v6, s20, v7
	global_store_dword v[4:5], v6, off
	s_branch .LBB68_9
.LBB68_26:
	s_endpgm
	.section	.rodata,"a",@progbits
	.p2align	6, 0x0
	.amdhsa_kernel _ZN9rocsparseL22bsrxmvn_general_kernelILj1024ELj32Efli18rocsparse_bfloat16S1_fEEv20rocsparse_direction_NS_24const_host_device_scalarIT1_EET3_PKS6_PKT2_SB_S8_PKT4_S6_PKT5_S5_PT6_21rocsparse_index_base_b
		.amdhsa_group_segment_fixed_size 0
		.amdhsa_private_segment_fixed_size 0
		.amdhsa_kernarg_size 104
		.amdhsa_user_sgpr_count 6
		.amdhsa_user_sgpr_private_segment_buffer 1
		.amdhsa_user_sgpr_dispatch_ptr 0
		.amdhsa_user_sgpr_queue_ptr 0
		.amdhsa_user_sgpr_kernarg_segment_ptr 1
		.amdhsa_user_sgpr_dispatch_id 0
		.amdhsa_user_sgpr_flat_scratch_init 0
		.amdhsa_user_sgpr_kernarg_preload_length 0
		.amdhsa_user_sgpr_kernarg_preload_offset 0
		.amdhsa_user_sgpr_private_segment_size 0
		.amdhsa_uses_dynamic_stack 0
		.amdhsa_system_sgpr_private_segment_wavefront_offset 0
		.amdhsa_system_sgpr_workgroup_id_x 1
		.amdhsa_system_sgpr_workgroup_id_y 0
		.amdhsa_system_sgpr_workgroup_id_z 0
		.amdhsa_system_sgpr_workgroup_info 0
		.amdhsa_system_vgpr_workitem_id 0
		.amdhsa_next_free_vgpr 18
		.amdhsa_next_free_sgpr 44
		.amdhsa_accum_offset 20
		.amdhsa_reserve_vcc 1
		.amdhsa_reserve_flat_scratch 0
		.amdhsa_float_round_mode_32 0
		.amdhsa_float_round_mode_16_64 0
		.amdhsa_float_denorm_mode_32 3
		.amdhsa_float_denorm_mode_16_64 3
		.amdhsa_dx10_clamp 1
		.amdhsa_ieee_mode 1
		.amdhsa_fp16_overflow 0
		.amdhsa_tg_split 0
		.amdhsa_exception_fp_ieee_invalid_op 0
		.amdhsa_exception_fp_denorm_src 0
		.amdhsa_exception_fp_ieee_div_zero 0
		.amdhsa_exception_fp_ieee_overflow 0
		.amdhsa_exception_fp_ieee_underflow 0
		.amdhsa_exception_fp_ieee_inexact 0
		.amdhsa_exception_int_div_zero 0
	.end_amdhsa_kernel
	.section	.text._ZN9rocsparseL22bsrxmvn_general_kernelILj1024ELj32Efli18rocsparse_bfloat16S1_fEEv20rocsparse_direction_NS_24const_host_device_scalarIT1_EET3_PKS6_PKT2_SB_S8_PKT4_S6_PKT5_S5_PT6_21rocsparse_index_base_b,"axG",@progbits,_ZN9rocsparseL22bsrxmvn_general_kernelILj1024ELj32Efli18rocsparse_bfloat16S1_fEEv20rocsparse_direction_NS_24const_host_device_scalarIT1_EET3_PKS6_PKT2_SB_S8_PKT4_S6_PKT5_S5_PT6_21rocsparse_index_base_b,comdat
.Lfunc_end68:
	.size	_ZN9rocsparseL22bsrxmvn_general_kernelILj1024ELj32Efli18rocsparse_bfloat16S1_fEEv20rocsparse_direction_NS_24const_host_device_scalarIT1_EET3_PKS6_PKT2_SB_S8_PKT4_S6_PKT5_S5_PT6_21rocsparse_index_base_b, .Lfunc_end68-_ZN9rocsparseL22bsrxmvn_general_kernelILj1024ELj32Efli18rocsparse_bfloat16S1_fEEv20rocsparse_direction_NS_24const_host_device_scalarIT1_EET3_PKS6_PKT2_SB_S8_PKT4_S6_PKT5_S5_PT6_21rocsparse_index_base_b
                                        ; -- End function
	.section	.AMDGPU.csdata,"",@progbits
; Kernel info:
; codeLenInByte = 988
; NumSgprs: 48
; NumVgprs: 18
; NumAgprs: 0
; TotalNumVgprs: 18
; ScratchSize: 0
; MemoryBound: 0
; FloatMode: 240
; IeeeMode: 1
; LDSByteSize: 0 bytes/workgroup (compile time only)
; SGPRBlocks: 5
; VGPRBlocks: 2
; NumSGPRsForWavesPerEU: 48
; NumVGPRsForWavesPerEU: 18
; AccumOffset: 20
; Occupancy: 8
; WaveLimiterHint : 1
; COMPUTE_PGM_RSRC2:SCRATCH_EN: 0
; COMPUTE_PGM_RSRC2:USER_SGPR: 6
; COMPUTE_PGM_RSRC2:TRAP_HANDLER: 0
; COMPUTE_PGM_RSRC2:TGID_X_EN: 1
; COMPUTE_PGM_RSRC2:TGID_Y_EN: 0
; COMPUTE_PGM_RSRC2:TGID_Z_EN: 0
; COMPUTE_PGM_RSRC2:TIDIG_COMP_CNT: 0
; COMPUTE_PGM_RSRC3_GFX90A:ACCUM_OFFSET: 4
; COMPUTE_PGM_RSRC3_GFX90A:TG_SPLIT: 0
	.section	.text._ZN9rocsparseL22bsrxmvn_general_kernelILj64ELj8Efll18rocsparse_bfloat16S1_fEEv20rocsparse_direction_NS_24const_host_device_scalarIT1_EET3_PKS6_PKT2_SB_S8_PKT4_S6_PKT5_S5_PT6_21rocsparse_index_base_b,"axG",@progbits,_ZN9rocsparseL22bsrxmvn_general_kernelILj64ELj8Efll18rocsparse_bfloat16S1_fEEv20rocsparse_direction_NS_24const_host_device_scalarIT1_EET3_PKS6_PKT2_SB_S8_PKT4_S6_PKT5_S5_PT6_21rocsparse_index_base_b,comdat
	.globl	_ZN9rocsparseL22bsrxmvn_general_kernelILj64ELj8Efll18rocsparse_bfloat16S1_fEEv20rocsparse_direction_NS_24const_host_device_scalarIT1_EET3_PKS6_PKT2_SB_S8_PKT4_S6_PKT5_S5_PT6_21rocsparse_index_base_b ; -- Begin function _ZN9rocsparseL22bsrxmvn_general_kernelILj64ELj8Efll18rocsparse_bfloat16S1_fEEv20rocsparse_direction_NS_24const_host_device_scalarIT1_EET3_PKS6_PKT2_SB_S8_PKT4_S6_PKT5_S5_PT6_21rocsparse_index_base_b
	.p2align	8
	.type	_ZN9rocsparseL22bsrxmvn_general_kernelILj64ELj8Efll18rocsparse_bfloat16S1_fEEv20rocsparse_direction_NS_24const_host_device_scalarIT1_EET3_PKS6_PKT2_SB_S8_PKT4_S6_PKT5_S5_PT6_21rocsparse_index_base_b,@function
_ZN9rocsparseL22bsrxmvn_general_kernelILj64ELj8Efll18rocsparse_bfloat16S1_fEEv20rocsparse_direction_NS_24const_host_device_scalarIT1_EET3_PKS6_PKT2_SB_S8_PKT4_S6_PKT5_S5_PT6_21rocsparse_index_base_b: ; @_ZN9rocsparseL22bsrxmvn_general_kernelILj64ELj8Efll18rocsparse_bfloat16S1_fEEv20rocsparse_direction_NS_24const_host_device_scalarIT1_EET3_PKS6_PKT2_SB_S8_PKT4_S6_PKT5_S5_PT6_21rocsparse_index_base_b
; %bb.0:
	s_load_dwordx2 s[16:17], s[4:5], 0x60
	s_load_dwordx2 s[18:19], s[4:5], 0x8
	;; [unrolled: 1-line block ×3, first 2 shown]
	s_waitcnt lgkmcnt(0)
	s_bitcmp1_b32 s17, 0
	s_cselect_b64 s[2:3], -1, 0
	s_xor_b64 s[0:1], s[2:3], -1
	s_and_b64 vcc, exec, s[2:3]
	s_cbranch_vccnz .LBB69_2
; %bb.1:
	s_load_dword s18, s[18:19], 0x0
.LBB69_2:
	s_andn2_b64 vcc, exec, s[0:1]
	s_cbranch_vccnz .LBB69_4
; %bb.3:
	s_load_dword s20, s[20:21], 0x0
.LBB69_4:
	s_waitcnt lgkmcnt(0)
	v_cmp_neq_f32_e64 s[0:1], s18, 0
	v_cmp_neq_f32_e64 s[2:3], s20, 1.0
	s_or_b64 s[0:1], s[0:1], s[2:3]
	s_andn2_b64 vcc, exec, s[0:1]
	s_mov_b32 s7, 0
	s_cbranch_vccnz .LBB69_26
; %bb.5:
	s_load_dwordx2 s[0:1], s[4:5], 0x18
	s_waitcnt lgkmcnt(0)
	s_cmp_eq_u64 s[0:1], 0
	s_cbranch_scc1 .LBB69_7
; %bb.6:
	s_lshl_b64 s[2:3], s[6:7], 3
	s_add_u32 s0, s0, s2
	s_addc_u32 s1, s1, s3
	s_load_dwordx2 s[0:1], s[0:1], 0x0
	s_waitcnt lgkmcnt(0)
	s_sub_u32 s6, s0, s16
	s_subb_u32 s7, s1, 0
.LBB69_7:
	s_load_dwordx2 s[22:23], s[4:5], 0x40
	v_lshrrev_b32_e32 v2, 3, v0
	v_mov_b32_e32 v3, 0
	s_waitcnt lgkmcnt(0)
	v_cmp_gt_i64_e32 vcc, s[22:23], v[2:3]
	s_and_saveexec_b64 s[0:1], vcc
	s_cbranch_execz .LBB69_26
; %bb.8:
	s_load_dwordx8 s[8:15], s[4:5], 0x20
	s_lshl_b64 s[0:1], s[6:7], 3
	v_and_b32_e32 v0, 7, v0
	v_lshlrev_b32_e32 v4, 1, v0
	v_mov_b32_e32 v1, v3
	s_waitcnt lgkmcnt(0)
	s_add_u32 s2, s8, s0
	s_addc_u32 s3, s9, s1
	s_load_dwordx2 s[34:35], s[2:3], 0x0
	s_load_dwordx2 s[30:31], s[4:5], 0x58
	;; [unrolled: 1-line block ×3, first 2 shown]
	s_mov_b64 s[8:9], 0
	s_mul_i32 s33, s22, s22
	s_waitcnt lgkmcnt(0)
	s_sub_u32 s24, s34, s16
	s_subb_u32 s25, s35, 0
	s_add_u32 s2, s2, 8
	s_addc_u32 s3, s3, 0
	s_add_u32 s0, s10, s0
	s_addc_u32 s1, s11, s1
	s_cmp_eq_u64 s[10:11], 0
	s_cselect_b32 s1, s3, s1
	s_cselect_b32 s0, s2, s0
	s_load_dwordx2 s[28:29], s[0:1], 0x0
	s_load_dword s17, s[4:5], 0x0
	s_mul_i32 s4, s6, s23
	s_mul_hi_u32 s5, s6, s22
	v_mov_b32_e32 v6, s24
	s_waitcnt lgkmcnt(0)
	s_sub_u32 s26, s28, s16
	s_subb_u32 s27, s29, 0
	s_cmp_lg_u32 s17, 0
	v_pk_mov_b32 v[8:9], s[28:29], s[28:29] op_sel:[0,1]
	s_cselect_b64 s[28:29], -1, 0
	s_add_i32 s4, s5, s4
	s_mul_i32 s5, s7, s22
	s_add_i32 s5, s4, s5
	s_mul_i32 s4, s6, s22
	s_lshl_b64 s[4:5], s[4:5], 2
	s_add_u32 s17, s30, s4
	s_addc_u32 s19, s31, s5
	s_mul_i32 s4, s23, s24
	s_mul_i32 s5, s22, s25
	s_add_i32 s21, s5, s4
	v_mad_u64_u32 v[6:7], s[4:5], s22, v6, v[2:3]
	v_mov_b32_e32 v5, s37
	v_add_co_u32_e32 v4, vcc, s36, v4
	v_add_u32_e32 v7, s21, v7
	v_addc_co_u32_e32 v5, vcc, 0, v5, vcc
	v_mul_lo_u32 v10, s22, v7
	v_mul_lo_u32 v11, s23, v6
	v_mad_u64_u32 v[6:7], s[4:5], s22, v6, 0
	s_mul_i32 s4, s22, s23
	s_mul_hi_u32 s5, s22, s22
	v_cmp_lt_i64_e32 vcc, s[34:35], v[8:9]
	s_add_i32 s5, s5, s4
	v_cndmask_b32_e64 v8, 0, 1, vcc
	v_cmp_eq_f32_e64 s[10:11], s20, 0
	v_cmp_gt_u64_e64 s[0:1], s[22:23], v[0:1]
	v_cmp_eq_u32_e64 s[2:3], 7, v0
	s_lshl_b64 s[6:7], s[22:23], 1
	v_add3_u32 v7, v7, v10, v11
	s_lshl_b64 s[30:31], s[22:23], 3
	s_add_i32 s21, s5, s4
	v_cmp_ne_u32_e64 s[4:5], 1, v8
	s_branch .LBB69_10
.LBB69_9:                               ;   in Loop: Header=BB69_10 Depth=1
	s_or_b64 exec, exec, s[34:35]
	v_add_co_u32_e32 v2, vcc, 8, v2
	v_addc_co_u32_e32 v3, vcc, 0, v3, vcc
	v_cmp_le_i64_e32 vcc, s[22:23], v[2:3]
	v_mov_b32_e32 v8, s31
	s_or_b64 s[8:9], vcc, s[8:9]
	v_add_co_u32_e32 v6, vcc, s30, v6
	v_addc_co_u32_e32 v7, vcc, v7, v8, vcc
	s_andn2_b64 exec, exec, s[8:9]
	s_cbranch_execz .LBB69_26
.LBB69_10:                              ; =>This Loop Header: Depth=1
                                        ;     Child Loop BB69_14 Depth 2
                                        ;       Child Loop BB69_17 Depth 3
	s_and_b64 vcc, exec, s[4:5]
	v_mov_b32_e32 v16, 0
	s_cbranch_vccnz .LBB69_21
; %bb.11:                               ;   in Loop: Header=BB69_10 Depth=1
	v_mov_b32_e32 v16, 0
	v_pk_mov_b32 v[8:9], v[6:7], v[6:7] op_sel:[0,1]
	s_mov_b64 s[34:35], s[24:25]
	s_branch .LBB69_14
.LBB69_12:                              ;   in Loop: Header=BB69_14 Depth=2
	s_or_b64 exec, exec, s[38:39]
.LBB69_13:                              ;   in Loop: Header=BB69_14 Depth=2
	s_or_b64 exec, exec, s[36:37]
	s_add_u32 s34, s34, 1
	v_mov_b32_e32 v10, s21
	v_add_co_u32_e32 v8, vcc, s33, v8
	s_addc_u32 s35, s35, 0
	v_addc_co_u32_e32 v9, vcc, v9, v10, vcc
	v_pk_mov_b32 v[10:11], s[26:27], s[26:27] op_sel:[0,1]
	v_cmp_ge_i64_e32 vcc, s[34:35], v[10:11]
	s_cbranch_vccnz .LBB69_21
.LBB69_14:                              ;   Parent Loop BB69_10 Depth=1
                                        ; =>  This Loop Header: Depth=2
                                        ;       Child Loop BB69_17 Depth 3
	s_and_saveexec_b64 s[36:37], s[0:1]
	s_cbranch_execz .LBB69_13
; %bb.15:                               ;   in Loop: Header=BB69_14 Depth=2
	s_lshl_b64 s[38:39], s[34:35], 3
	s_add_u32 s38, s12, s38
	s_addc_u32 s39, s13, s39
	s_load_dwordx2 s[38:39], s[38:39], 0x0
	s_mul_i32 s40, s34, s23
	s_mul_hi_u32 s41, s34, s22
	s_mul_i32 s42, s35, s22
	s_mul_i32 s43, s34, s22
	s_waitcnt lgkmcnt(0)
	s_sub_u32 s38, s38, s16
	s_subb_u32 s39, s39, 0
	s_add_i32 s40, s41, s40
	s_add_i32 s42, s40, s42
	s_mul_i32 s40, s7, s38
	s_mul_i32 s39, s6, s39
	v_mov_b32_e32 v10, s38
	s_add_i32 s40, s39, s40
	v_mad_u64_u32 v[10:11], s[38:39], s6, v10, v[4:5]
	v_add_u32_e32 v11, s40, v11
	s_mov_b64 s[38:39], 0
	v_pk_mov_b32 v[12:13], v[0:1], v[0:1] op_sel:[0,1]
	s_branch .LBB69_17
.LBB69_16:                              ;   in Loop: Header=BB69_17 Depth=3
	v_lshlrev_b64 v[14:15], 1, v[14:15]
	v_mov_b32_e32 v17, s15
	v_add_co_u32_e32 v14, vcc, s14, v14
	v_addc_co_u32_e32 v15, vcc, v17, v15, vcc
	global_load_ushort v17, v[10:11], off
	global_load_ushort v18, v[14:15], off
	v_add_co_u32_e32 v12, vcc, 8, v12
	v_addc_co_u32_e32 v13, vcc, 0, v13, vcc
	v_cmp_le_i64_e32 vcc, s[22:23], v[12:13]
	s_or_b64 s[38:39], vcc, s[38:39]
	v_add_co_u32_e32 v10, vcc, 16, v10
	v_addc_co_u32_e32 v11, vcc, 0, v11, vcc
	s_waitcnt vmcnt(1)
	v_lshlrev_b32_e32 v14, 16, v17
	s_waitcnt vmcnt(0)
	v_lshlrev_b32_e32 v15, 16, v18
	v_fmac_f32_e32 v16, v15, v14
	s_andn2_b64 exec, exec, s[38:39]
	s_cbranch_execz .LBB69_12
.LBB69_17:                              ;   Parent Loop BB69_10 Depth=1
                                        ;     Parent Loop BB69_14 Depth=2
                                        ; =>    This Inner Loop Header: Depth=3
	s_and_b64 vcc, exec, s[28:29]
	s_cbranch_vccz .LBB69_19
; %bb.18:                               ;   in Loop: Header=BB69_17 Depth=3
	v_mov_b32_e32 v14, s42
	v_add_co_u32_e32 v15, vcc, s43, v12
	v_addc_co_u32_e32 v14, vcc, v13, v14, vcc
	v_mul_lo_u32 v17, v15, s23
	v_mul_lo_u32 v18, v14, s22
	v_mad_u64_u32 v[14:15], s[40:41], v15, s22, v[2:3]
	v_add3_u32 v15, v18, v15, v17
	s_cbranch_execnz .LBB69_16
	s_branch .LBB69_20
.LBB69_19:                              ;   in Loop: Header=BB69_17 Depth=3
                                        ; implicit-def: $vgpr14_vgpr15
.LBB69_20:                              ;   in Loop: Header=BB69_17 Depth=3
	v_add_co_u32_e32 v14, vcc, v8, v12
	v_addc_co_u32_e32 v15, vcc, v9, v13, vcc
	s_branch .LBB69_16
.LBB69_21:                              ;   in Loop: Header=BB69_10 Depth=1
	s_nop 0
	v_mov_b32_dpp v8, v16 row_shr:1 row_mask:0xf bank_mask:0xf
	v_add_f32_e32 v8, v16, v8
	s_nop 1
	v_mov_b32_dpp v9, v8 row_shr:2 row_mask:0xf bank_mask:0xf
	v_add_f32_e32 v8, v8, v9
	s_nop 1
	v_mov_b32_dpp v9, v8 row_shr:4 row_mask:0xf bank_mask:0xe
	s_and_saveexec_b64 s[34:35], s[2:3]
	s_cbranch_execz .LBB69_9
; %bb.22:                               ;   in Loop: Header=BB69_10 Depth=1
	v_add_f32_e32 v8, v8, v9
	s_and_b64 vcc, exec, s[10:11]
	v_mul_f32_e32 v10, s18, v8
	v_lshlrev_b64 v[8:9], 2, v[2:3]
	s_cbranch_vccz .LBB69_24
; %bb.23:                               ;   in Loop: Header=BB69_10 Depth=1
	v_mov_b32_e32 v11, s19
	v_add_co_u32_e32 v12, vcc, s17, v8
	v_addc_co_u32_e32 v13, vcc, v11, v9, vcc
	global_store_dword v[12:13], v10, off
	s_cbranch_execnz .LBB69_9
	s_branch .LBB69_25
.LBB69_24:                              ;   in Loop: Header=BB69_10 Depth=1
.LBB69_25:                              ;   in Loop: Header=BB69_10 Depth=1
	v_mov_b32_e32 v11, s19
	v_add_co_u32_e32 v8, vcc, s17, v8
	v_addc_co_u32_e32 v9, vcc, v11, v9, vcc
	global_load_dword v11, v[8:9], off
	s_waitcnt vmcnt(0)
	v_fmac_f32_e32 v10, s20, v11
	global_store_dword v[8:9], v10, off
	s_branch .LBB69_9
.LBB69_26:
	s_endpgm
	.section	.rodata,"a",@progbits
	.p2align	6, 0x0
	.amdhsa_kernel _ZN9rocsparseL22bsrxmvn_general_kernelILj64ELj8Efll18rocsparse_bfloat16S1_fEEv20rocsparse_direction_NS_24const_host_device_scalarIT1_EET3_PKS6_PKT2_SB_S8_PKT4_S6_PKT5_S5_PT6_21rocsparse_index_base_b
		.amdhsa_group_segment_fixed_size 0
		.amdhsa_private_segment_fixed_size 0
		.amdhsa_kernarg_size 104
		.amdhsa_user_sgpr_count 6
		.amdhsa_user_sgpr_private_segment_buffer 1
		.amdhsa_user_sgpr_dispatch_ptr 0
		.amdhsa_user_sgpr_queue_ptr 0
		.amdhsa_user_sgpr_kernarg_segment_ptr 1
		.amdhsa_user_sgpr_dispatch_id 0
		.amdhsa_user_sgpr_flat_scratch_init 0
		.amdhsa_user_sgpr_kernarg_preload_length 0
		.amdhsa_user_sgpr_kernarg_preload_offset 0
		.amdhsa_user_sgpr_private_segment_size 0
		.amdhsa_uses_dynamic_stack 0
		.amdhsa_system_sgpr_private_segment_wavefront_offset 0
		.amdhsa_system_sgpr_workgroup_id_x 1
		.amdhsa_system_sgpr_workgroup_id_y 0
		.amdhsa_system_sgpr_workgroup_id_z 0
		.amdhsa_system_sgpr_workgroup_info 0
		.amdhsa_system_vgpr_workitem_id 0
		.amdhsa_next_free_vgpr 19
		.amdhsa_next_free_sgpr 44
		.amdhsa_accum_offset 20
		.amdhsa_reserve_vcc 1
		.amdhsa_reserve_flat_scratch 0
		.amdhsa_float_round_mode_32 0
		.amdhsa_float_round_mode_16_64 0
		.amdhsa_float_denorm_mode_32 3
		.amdhsa_float_denorm_mode_16_64 3
		.amdhsa_dx10_clamp 1
		.amdhsa_ieee_mode 1
		.amdhsa_fp16_overflow 0
		.amdhsa_tg_split 0
		.amdhsa_exception_fp_ieee_invalid_op 0
		.amdhsa_exception_fp_denorm_src 0
		.amdhsa_exception_fp_ieee_div_zero 0
		.amdhsa_exception_fp_ieee_overflow 0
		.amdhsa_exception_fp_ieee_underflow 0
		.amdhsa_exception_fp_ieee_inexact 0
		.amdhsa_exception_int_div_zero 0
	.end_amdhsa_kernel
	.section	.text._ZN9rocsparseL22bsrxmvn_general_kernelILj64ELj8Efll18rocsparse_bfloat16S1_fEEv20rocsparse_direction_NS_24const_host_device_scalarIT1_EET3_PKS6_PKT2_SB_S8_PKT4_S6_PKT5_S5_PT6_21rocsparse_index_base_b,"axG",@progbits,_ZN9rocsparseL22bsrxmvn_general_kernelILj64ELj8Efll18rocsparse_bfloat16S1_fEEv20rocsparse_direction_NS_24const_host_device_scalarIT1_EET3_PKS6_PKT2_SB_S8_PKT4_S6_PKT5_S5_PT6_21rocsparse_index_base_b,comdat
.Lfunc_end69:
	.size	_ZN9rocsparseL22bsrxmvn_general_kernelILj64ELj8Efll18rocsparse_bfloat16S1_fEEv20rocsparse_direction_NS_24const_host_device_scalarIT1_EET3_PKS6_PKT2_SB_S8_PKT4_S6_PKT5_S5_PT6_21rocsparse_index_base_b, .Lfunc_end69-_ZN9rocsparseL22bsrxmvn_general_kernelILj64ELj8Efll18rocsparse_bfloat16S1_fEEv20rocsparse_direction_NS_24const_host_device_scalarIT1_EET3_PKS6_PKT2_SB_S8_PKT4_S6_PKT5_S5_PT6_21rocsparse_index_base_b
                                        ; -- End function
	.section	.AMDGPU.csdata,"",@progbits
; Kernel info:
; codeLenInByte = 1056
; NumSgprs: 48
; NumVgprs: 19
; NumAgprs: 0
; TotalNumVgprs: 19
; ScratchSize: 0
; MemoryBound: 0
; FloatMode: 240
; IeeeMode: 1
; LDSByteSize: 0 bytes/workgroup (compile time only)
; SGPRBlocks: 5
; VGPRBlocks: 2
; NumSGPRsForWavesPerEU: 48
; NumVGPRsForWavesPerEU: 19
; AccumOffset: 20
; Occupancy: 8
; WaveLimiterHint : 0
; COMPUTE_PGM_RSRC2:SCRATCH_EN: 0
; COMPUTE_PGM_RSRC2:USER_SGPR: 6
; COMPUTE_PGM_RSRC2:TRAP_HANDLER: 0
; COMPUTE_PGM_RSRC2:TGID_X_EN: 1
; COMPUTE_PGM_RSRC2:TGID_Y_EN: 0
; COMPUTE_PGM_RSRC2:TGID_Z_EN: 0
; COMPUTE_PGM_RSRC2:TIDIG_COMP_CNT: 0
; COMPUTE_PGM_RSRC3_GFX90A:ACCUM_OFFSET: 4
; COMPUTE_PGM_RSRC3_GFX90A:TG_SPLIT: 0
	.section	.text._ZN9rocsparseL22bsrxmvn_general_kernelILj256ELj16Efll18rocsparse_bfloat16S1_fEEv20rocsparse_direction_NS_24const_host_device_scalarIT1_EET3_PKS6_PKT2_SB_S8_PKT4_S6_PKT5_S5_PT6_21rocsparse_index_base_b,"axG",@progbits,_ZN9rocsparseL22bsrxmvn_general_kernelILj256ELj16Efll18rocsparse_bfloat16S1_fEEv20rocsparse_direction_NS_24const_host_device_scalarIT1_EET3_PKS6_PKT2_SB_S8_PKT4_S6_PKT5_S5_PT6_21rocsparse_index_base_b,comdat
	.globl	_ZN9rocsparseL22bsrxmvn_general_kernelILj256ELj16Efll18rocsparse_bfloat16S1_fEEv20rocsparse_direction_NS_24const_host_device_scalarIT1_EET3_PKS6_PKT2_SB_S8_PKT4_S6_PKT5_S5_PT6_21rocsparse_index_base_b ; -- Begin function _ZN9rocsparseL22bsrxmvn_general_kernelILj256ELj16Efll18rocsparse_bfloat16S1_fEEv20rocsparse_direction_NS_24const_host_device_scalarIT1_EET3_PKS6_PKT2_SB_S8_PKT4_S6_PKT5_S5_PT6_21rocsparse_index_base_b
	.p2align	8
	.type	_ZN9rocsparseL22bsrxmvn_general_kernelILj256ELj16Efll18rocsparse_bfloat16S1_fEEv20rocsparse_direction_NS_24const_host_device_scalarIT1_EET3_PKS6_PKT2_SB_S8_PKT4_S6_PKT5_S5_PT6_21rocsparse_index_base_b,@function
_ZN9rocsparseL22bsrxmvn_general_kernelILj256ELj16Efll18rocsparse_bfloat16S1_fEEv20rocsparse_direction_NS_24const_host_device_scalarIT1_EET3_PKS6_PKT2_SB_S8_PKT4_S6_PKT5_S5_PT6_21rocsparse_index_base_b: ; @_ZN9rocsparseL22bsrxmvn_general_kernelILj256ELj16Efll18rocsparse_bfloat16S1_fEEv20rocsparse_direction_NS_24const_host_device_scalarIT1_EET3_PKS6_PKT2_SB_S8_PKT4_S6_PKT5_S5_PT6_21rocsparse_index_base_b
; %bb.0:
	s_load_dwordx2 s[16:17], s[4:5], 0x60
	s_load_dwordx2 s[18:19], s[4:5], 0x8
	;; [unrolled: 1-line block ×3, first 2 shown]
	s_waitcnt lgkmcnt(0)
	s_bitcmp1_b32 s17, 0
	s_cselect_b64 s[2:3], -1, 0
	s_xor_b64 s[0:1], s[2:3], -1
	s_and_b64 vcc, exec, s[2:3]
	s_cbranch_vccnz .LBB70_2
; %bb.1:
	s_load_dword s18, s[18:19], 0x0
.LBB70_2:
	s_andn2_b64 vcc, exec, s[0:1]
	s_cbranch_vccnz .LBB70_4
; %bb.3:
	s_load_dword s20, s[20:21], 0x0
.LBB70_4:
	s_waitcnt lgkmcnt(0)
	v_cmp_neq_f32_e64 s[0:1], s18, 0
	v_cmp_neq_f32_e64 s[2:3], s20, 1.0
	s_or_b64 s[0:1], s[0:1], s[2:3]
	s_andn2_b64 vcc, exec, s[0:1]
	s_mov_b32 s7, 0
	s_cbranch_vccnz .LBB70_26
; %bb.5:
	s_load_dwordx2 s[0:1], s[4:5], 0x18
	s_waitcnt lgkmcnt(0)
	s_cmp_eq_u64 s[0:1], 0
	s_cbranch_scc1 .LBB70_7
; %bb.6:
	s_lshl_b64 s[2:3], s[6:7], 3
	s_add_u32 s0, s0, s2
	s_addc_u32 s1, s1, s3
	s_load_dwordx2 s[0:1], s[0:1], 0x0
	s_waitcnt lgkmcnt(0)
	s_sub_u32 s6, s0, s16
	s_subb_u32 s7, s1, 0
.LBB70_7:
	s_load_dwordx2 s[22:23], s[4:5], 0x40
	v_lshrrev_b32_e32 v2, 4, v0
	v_mov_b32_e32 v3, 0
	s_waitcnt lgkmcnt(0)
	v_cmp_gt_i64_e32 vcc, s[22:23], v[2:3]
	s_and_saveexec_b64 s[0:1], vcc
	s_cbranch_execz .LBB70_26
; %bb.8:
	s_load_dwordx8 s[8:15], s[4:5], 0x20
	s_lshl_b64 s[0:1], s[6:7], 3
	v_and_b32_e32 v0, 15, v0
	v_lshlrev_b32_e32 v4, 1, v0
	v_mov_b32_e32 v1, v3
	s_waitcnt lgkmcnt(0)
	s_add_u32 s2, s8, s0
	s_addc_u32 s3, s9, s1
	s_load_dwordx2 s[34:35], s[2:3], 0x0
	s_load_dwordx2 s[30:31], s[4:5], 0x58
	;; [unrolled: 1-line block ×3, first 2 shown]
	s_mov_b64 s[8:9], 0
	s_mul_i32 s33, s22, s22
	s_waitcnt lgkmcnt(0)
	s_sub_u32 s24, s34, s16
	s_subb_u32 s25, s35, 0
	s_add_u32 s2, s2, 8
	s_addc_u32 s3, s3, 0
	s_add_u32 s0, s10, s0
	s_addc_u32 s1, s11, s1
	s_cmp_eq_u64 s[10:11], 0
	s_cselect_b32 s1, s3, s1
	s_cselect_b32 s0, s2, s0
	s_load_dwordx2 s[28:29], s[0:1], 0x0
	s_load_dword s17, s[4:5], 0x0
	s_mul_i32 s4, s6, s23
	s_mul_hi_u32 s5, s6, s22
	v_mov_b32_e32 v6, s24
	s_waitcnt lgkmcnt(0)
	s_sub_u32 s26, s28, s16
	s_subb_u32 s27, s29, 0
	s_cmp_lg_u32 s17, 0
	v_pk_mov_b32 v[8:9], s[28:29], s[28:29] op_sel:[0,1]
	s_cselect_b64 s[28:29], -1, 0
	s_add_i32 s4, s5, s4
	s_mul_i32 s5, s7, s22
	s_add_i32 s5, s4, s5
	s_mul_i32 s4, s6, s22
	s_lshl_b64 s[4:5], s[4:5], 2
	s_add_u32 s17, s30, s4
	s_addc_u32 s19, s31, s5
	s_mul_i32 s4, s23, s24
	s_mul_i32 s5, s22, s25
	s_add_i32 s21, s5, s4
	v_mad_u64_u32 v[6:7], s[4:5], s22, v6, v[2:3]
	v_mov_b32_e32 v5, s37
	v_add_co_u32_e32 v4, vcc, s36, v4
	v_add_u32_e32 v7, s21, v7
	v_addc_co_u32_e32 v5, vcc, 0, v5, vcc
	v_mul_lo_u32 v10, s22, v7
	v_mul_lo_u32 v11, s23, v6
	v_mad_u64_u32 v[6:7], s[4:5], s22, v6, 0
	s_mul_i32 s4, s22, s23
	s_mul_hi_u32 s5, s22, s22
	v_cmp_lt_i64_e32 vcc, s[34:35], v[8:9]
	s_add_i32 s5, s5, s4
	v_cndmask_b32_e64 v8, 0, 1, vcc
	v_cmp_eq_f32_e64 s[10:11], s20, 0
	v_cmp_gt_u64_e64 s[0:1], s[22:23], v[0:1]
	v_cmp_eq_u32_e64 s[2:3], 15, v0
	s_lshl_b64 s[6:7], s[22:23], 1
	v_add3_u32 v7, v7, v10, v11
	s_lshl_b64 s[30:31], s[22:23], 4
	s_add_i32 s21, s5, s4
	v_cmp_ne_u32_e64 s[4:5], 1, v8
	s_branch .LBB70_10
.LBB70_9:                               ;   in Loop: Header=BB70_10 Depth=1
	s_or_b64 exec, exec, s[34:35]
	v_add_co_u32_e32 v2, vcc, 16, v2
	v_addc_co_u32_e32 v3, vcc, 0, v3, vcc
	v_cmp_le_i64_e32 vcc, s[22:23], v[2:3]
	v_mov_b32_e32 v8, s31
	s_or_b64 s[8:9], vcc, s[8:9]
	v_add_co_u32_e32 v6, vcc, s30, v6
	v_addc_co_u32_e32 v7, vcc, v7, v8, vcc
	s_andn2_b64 exec, exec, s[8:9]
	s_cbranch_execz .LBB70_26
.LBB70_10:                              ; =>This Loop Header: Depth=1
                                        ;     Child Loop BB70_14 Depth 2
                                        ;       Child Loop BB70_17 Depth 3
	s_and_b64 vcc, exec, s[4:5]
	v_mov_b32_e32 v16, 0
	s_cbranch_vccnz .LBB70_21
; %bb.11:                               ;   in Loop: Header=BB70_10 Depth=1
	v_mov_b32_e32 v16, 0
	v_pk_mov_b32 v[8:9], v[6:7], v[6:7] op_sel:[0,1]
	s_mov_b64 s[34:35], s[24:25]
	s_branch .LBB70_14
.LBB70_12:                              ;   in Loop: Header=BB70_14 Depth=2
	s_or_b64 exec, exec, s[38:39]
.LBB70_13:                              ;   in Loop: Header=BB70_14 Depth=2
	s_or_b64 exec, exec, s[36:37]
	s_add_u32 s34, s34, 1
	v_mov_b32_e32 v10, s21
	v_add_co_u32_e32 v8, vcc, s33, v8
	s_addc_u32 s35, s35, 0
	v_addc_co_u32_e32 v9, vcc, v9, v10, vcc
	v_pk_mov_b32 v[10:11], s[26:27], s[26:27] op_sel:[0,1]
	v_cmp_ge_i64_e32 vcc, s[34:35], v[10:11]
	s_cbranch_vccnz .LBB70_21
.LBB70_14:                              ;   Parent Loop BB70_10 Depth=1
                                        ; =>  This Loop Header: Depth=2
                                        ;       Child Loop BB70_17 Depth 3
	s_and_saveexec_b64 s[36:37], s[0:1]
	s_cbranch_execz .LBB70_13
; %bb.15:                               ;   in Loop: Header=BB70_14 Depth=2
	s_lshl_b64 s[38:39], s[34:35], 3
	s_add_u32 s38, s12, s38
	s_addc_u32 s39, s13, s39
	s_load_dwordx2 s[38:39], s[38:39], 0x0
	s_mul_i32 s40, s34, s23
	s_mul_hi_u32 s41, s34, s22
	s_mul_i32 s42, s35, s22
	s_mul_i32 s43, s34, s22
	s_waitcnt lgkmcnt(0)
	s_sub_u32 s38, s38, s16
	s_subb_u32 s39, s39, 0
	s_add_i32 s40, s41, s40
	s_add_i32 s42, s40, s42
	s_mul_i32 s40, s7, s38
	s_mul_i32 s39, s6, s39
	v_mov_b32_e32 v10, s38
	s_add_i32 s40, s39, s40
	v_mad_u64_u32 v[10:11], s[38:39], s6, v10, v[4:5]
	v_add_u32_e32 v11, s40, v11
	s_mov_b64 s[38:39], 0
	v_pk_mov_b32 v[12:13], v[0:1], v[0:1] op_sel:[0,1]
	s_branch .LBB70_17
.LBB70_16:                              ;   in Loop: Header=BB70_17 Depth=3
	v_lshlrev_b64 v[14:15], 1, v[14:15]
	v_mov_b32_e32 v17, s15
	v_add_co_u32_e32 v14, vcc, s14, v14
	v_addc_co_u32_e32 v15, vcc, v17, v15, vcc
	global_load_ushort v17, v[10:11], off
	global_load_ushort v18, v[14:15], off
	v_add_co_u32_e32 v12, vcc, 16, v12
	v_addc_co_u32_e32 v13, vcc, 0, v13, vcc
	v_cmp_le_i64_e32 vcc, s[22:23], v[12:13]
	s_or_b64 s[38:39], vcc, s[38:39]
	v_add_co_u32_e32 v10, vcc, 32, v10
	v_addc_co_u32_e32 v11, vcc, 0, v11, vcc
	s_waitcnt vmcnt(1)
	v_lshlrev_b32_e32 v14, 16, v17
	s_waitcnt vmcnt(0)
	v_lshlrev_b32_e32 v15, 16, v18
	v_fmac_f32_e32 v16, v15, v14
	s_andn2_b64 exec, exec, s[38:39]
	s_cbranch_execz .LBB70_12
.LBB70_17:                              ;   Parent Loop BB70_10 Depth=1
                                        ;     Parent Loop BB70_14 Depth=2
                                        ; =>    This Inner Loop Header: Depth=3
	s_and_b64 vcc, exec, s[28:29]
	s_cbranch_vccz .LBB70_19
; %bb.18:                               ;   in Loop: Header=BB70_17 Depth=3
	v_mov_b32_e32 v14, s42
	v_add_co_u32_e32 v15, vcc, s43, v12
	v_addc_co_u32_e32 v14, vcc, v13, v14, vcc
	v_mul_lo_u32 v17, v15, s23
	v_mul_lo_u32 v18, v14, s22
	v_mad_u64_u32 v[14:15], s[40:41], v15, s22, v[2:3]
	v_add3_u32 v15, v18, v15, v17
	s_cbranch_execnz .LBB70_16
	s_branch .LBB70_20
.LBB70_19:                              ;   in Loop: Header=BB70_17 Depth=3
                                        ; implicit-def: $vgpr14_vgpr15
.LBB70_20:                              ;   in Loop: Header=BB70_17 Depth=3
	v_add_co_u32_e32 v14, vcc, v8, v12
	v_addc_co_u32_e32 v15, vcc, v9, v13, vcc
	s_branch .LBB70_16
.LBB70_21:                              ;   in Loop: Header=BB70_10 Depth=1
	s_nop 0
	v_mov_b32_dpp v8, v16 row_shr:1 row_mask:0xf bank_mask:0xf
	v_add_f32_e32 v8, v16, v8
	s_nop 1
	v_mov_b32_dpp v9, v8 row_shr:2 row_mask:0xf bank_mask:0xf
	v_add_f32_e32 v8, v8, v9
	;; [unrolled: 3-line block ×3, first 2 shown]
	s_nop 1
	v_mov_b32_dpp v9, v8 row_shr:8 row_mask:0xf bank_mask:0xc
	s_and_saveexec_b64 s[34:35], s[2:3]
	s_cbranch_execz .LBB70_9
; %bb.22:                               ;   in Loop: Header=BB70_10 Depth=1
	v_add_f32_e32 v8, v8, v9
	s_and_b64 vcc, exec, s[10:11]
	v_mul_f32_e32 v10, s18, v8
	v_lshlrev_b64 v[8:9], 2, v[2:3]
	s_cbranch_vccz .LBB70_24
; %bb.23:                               ;   in Loop: Header=BB70_10 Depth=1
	v_mov_b32_e32 v11, s19
	v_add_co_u32_e32 v12, vcc, s17, v8
	v_addc_co_u32_e32 v13, vcc, v11, v9, vcc
	global_store_dword v[12:13], v10, off
	s_cbranch_execnz .LBB70_9
	s_branch .LBB70_25
.LBB70_24:                              ;   in Loop: Header=BB70_10 Depth=1
.LBB70_25:                              ;   in Loop: Header=BB70_10 Depth=1
	v_mov_b32_e32 v11, s19
	v_add_co_u32_e32 v8, vcc, s17, v8
	v_addc_co_u32_e32 v9, vcc, v11, v9, vcc
	global_load_dword v11, v[8:9], off
	s_waitcnt vmcnt(0)
	v_fmac_f32_e32 v10, s20, v11
	global_store_dword v[8:9], v10, off
	s_branch .LBB70_9
.LBB70_26:
	s_endpgm
	.section	.rodata,"a",@progbits
	.p2align	6, 0x0
	.amdhsa_kernel _ZN9rocsparseL22bsrxmvn_general_kernelILj256ELj16Efll18rocsparse_bfloat16S1_fEEv20rocsparse_direction_NS_24const_host_device_scalarIT1_EET3_PKS6_PKT2_SB_S8_PKT4_S6_PKT5_S5_PT6_21rocsparse_index_base_b
		.amdhsa_group_segment_fixed_size 0
		.amdhsa_private_segment_fixed_size 0
		.amdhsa_kernarg_size 104
		.amdhsa_user_sgpr_count 6
		.amdhsa_user_sgpr_private_segment_buffer 1
		.amdhsa_user_sgpr_dispatch_ptr 0
		.amdhsa_user_sgpr_queue_ptr 0
		.amdhsa_user_sgpr_kernarg_segment_ptr 1
		.amdhsa_user_sgpr_dispatch_id 0
		.amdhsa_user_sgpr_flat_scratch_init 0
		.amdhsa_user_sgpr_kernarg_preload_length 0
		.amdhsa_user_sgpr_kernarg_preload_offset 0
		.amdhsa_user_sgpr_private_segment_size 0
		.amdhsa_uses_dynamic_stack 0
		.amdhsa_system_sgpr_private_segment_wavefront_offset 0
		.amdhsa_system_sgpr_workgroup_id_x 1
		.amdhsa_system_sgpr_workgroup_id_y 0
		.amdhsa_system_sgpr_workgroup_id_z 0
		.amdhsa_system_sgpr_workgroup_info 0
		.amdhsa_system_vgpr_workitem_id 0
		.amdhsa_next_free_vgpr 19
		.amdhsa_next_free_sgpr 44
		.amdhsa_accum_offset 20
		.amdhsa_reserve_vcc 1
		.amdhsa_reserve_flat_scratch 0
		.amdhsa_float_round_mode_32 0
		.amdhsa_float_round_mode_16_64 0
		.amdhsa_float_denorm_mode_32 3
		.amdhsa_float_denorm_mode_16_64 3
		.amdhsa_dx10_clamp 1
		.amdhsa_ieee_mode 1
		.amdhsa_fp16_overflow 0
		.amdhsa_tg_split 0
		.amdhsa_exception_fp_ieee_invalid_op 0
		.amdhsa_exception_fp_denorm_src 0
		.amdhsa_exception_fp_ieee_div_zero 0
		.amdhsa_exception_fp_ieee_overflow 0
		.amdhsa_exception_fp_ieee_underflow 0
		.amdhsa_exception_fp_ieee_inexact 0
		.amdhsa_exception_int_div_zero 0
	.end_amdhsa_kernel
	.section	.text._ZN9rocsparseL22bsrxmvn_general_kernelILj256ELj16Efll18rocsparse_bfloat16S1_fEEv20rocsparse_direction_NS_24const_host_device_scalarIT1_EET3_PKS6_PKT2_SB_S8_PKT4_S6_PKT5_S5_PT6_21rocsparse_index_base_b,"axG",@progbits,_ZN9rocsparseL22bsrxmvn_general_kernelILj256ELj16Efll18rocsparse_bfloat16S1_fEEv20rocsparse_direction_NS_24const_host_device_scalarIT1_EET3_PKS6_PKT2_SB_S8_PKT4_S6_PKT5_S5_PT6_21rocsparse_index_base_b,comdat
.Lfunc_end70:
	.size	_ZN9rocsparseL22bsrxmvn_general_kernelILj256ELj16Efll18rocsparse_bfloat16S1_fEEv20rocsparse_direction_NS_24const_host_device_scalarIT1_EET3_PKS6_PKT2_SB_S8_PKT4_S6_PKT5_S5_PT6_21rocsparse_index_base_b, .Lfunc_end70-_ZN9rocsparseL22bsrxmvn_general_kernelILj256ELj16Efll18rocsparse_bfloat16S1_fEEv20rocsparse_direction_NS_24const_host_device_scalarIT1_EET3_PKS6_PKT2_SB_S8_PKT4_S6_PKT5_S5_PT6_21rocsparse_index_base_b
                                        ; -- End function
	.section	.AMDGPU.csdata,"",@progbits
; Kernel info:
; codeLenInByte = 1072
; NumSgprs: 48
; NumVgprs: 19
; NumAgprs: 0
; TotalNumVgprs: 19
; ScratchSize: 0
; MemoryBound: 0
; FloatMode: 240
; IeeeMode: 1
; LDSByteSize: 0 bytes/workgroup (compile time only)
; SGPRBlocks: 5
; VGPRBlocks: 2
; NumSGPRsForWavesPerEU: 48
; NumVGPRsForWavesPerEU: 19
; AccumOffset: 20
; Occupancy: 8
; WaveLimiterHint : 0
; COMPUTE_PGM_RSRC2:SCRATCH_EN: 0
; COMPUTE_PGM_RSRC2:USER_SGPR: 6
; COMPUTE_PGM_RSRC2:TRAP_HANDLER: 0
; COMPUTE_PGM_RSRC2:TGID_X_EN: 1
; COMPUTE_PGM_RSRC2:TGID_Y_EN: 0
; COMPUTE_PGM_RSRC2:TGID_Z_EN: 0
; COMPUTE_PGM_RSRC2:TIDIG_COMP_CNT: 0
; COMPUTE_PGM_RSRC3_GFX90A:ACCUM_OFFSET: 4
; COMPUTE_PGM_RSRC3_GFX90A:TG_SPLIT: 0
	.section	.text._ZN9rocsparseL22bsrxmvn_general_kernelILj1024ELj32Efll18rocsparse_bfloat16S1_fEEv20rocsparse_direction_NS_24const_host_device_scalarIT1_EET3_PKS6_PKT2_SB_S8_PKT4_S6_PKT5_S5_PT6_21rocsparse_index_base_b,"axG",@progbits,_ZN9rocsparseL22bsrxmvn_general_kernelILj1024ELj32Efll18rocsparse_bfloat16S1_fEEv20rocsparse_direction_NS_24const_host_device_scalarIT1_EET3_PKS6_PKT2_SB_S8_PKT4_S6_PKT5_S5_PT6_21rocsparse_index_base_b,comdat
	.globl	_ZN9rocsparseL22bsrxmvn_general_kernelILj1024ELj32Efll18rocsparse_bfloat16S1_fEEv20rocsparse_direction_NS_24const_host_device_scalarIT1_EET3_PKS6_PKT2_SB_S8_PKT4_S6_PKT5_S5_PT6_21rocsparse_index_base_b ; -- Begin function _ZN9rocsparseL22bsrxmvn_general_kernelILj1024ELj32Efll18rocsparse_bfloat16S1_fEEv20rocsparse_direction_NS_24const_host_device_scalarIT1_EET3_PKS6_PKT2_SB_S8_PKT4_S6_PKT5_S5_PT6_21rocsparse_index_base_b
	.p2align	8
	.type	_ZN9rocsparseL22bsrxmvn_general_kernelILj1024ELj32Efll18rocsparse_bfloat16S1_fEEv20rocsparse_direction_NS_24const_host_device_scalarIT1_EET3_PKS6_PKT2_SB_S8_PKT4_S6_PKT5_S5_PT6_21rocsparse_index_base_b,@function
_ZN9rocsparseL22bsrxmvn_general_kernelILj1024ELj32Efll18rocsparse_bfloat16S1_fEEv20rocsparse_direction_NS_24const_host_device_scalarIT1_EET3_PKS6_PKT2_SB_S8_PKT4_S6_PKT5_S5_PT6_21rocsparse_index_base_b: ; @_ZN9rocsparseL22bsrxmvn_general_kernelILj1024ELj32Efll18rocsparse_bfloat16S1_fEEv20rocsparse_direction_NS_24const_host_device_scalarIT1_EET3_PKS6_PKT2_SB_S8_PKT4_S6_PKT5_S5_PT6_21rocsparse_index_base_b
; %bb.0:
	s_load_dwordx2 s[16:17], s[4:5], 0x60
	s_load_dwordx2 s[18:19], s[4:5], 0x8
	;; [unrolled: 1-line block ×3, first 2 shown]
	s_waitcnt lgkmcnt(0)
	s_bitcmp1_b32 s17, 0
	s_cselect_b64 s[2:3], -1, 0
	s_xor_b64 s[0:1], s[2:3], -1
	s_and_b64 vcc, exec, s[2:3]
	s_cbranch_vccnz .LBB71_2
; %bb.1:
	s_load_dword s18, s[18:19], 0x0
.LBB71_2:
	s_andn2_b64 vcc, exec, s[0:1]
	s_cbranch_vccnz .LBB71_4
; %bb.3:
	s_load_dword s20, s[20:21], 0x0
.LBB71_4:
	s_waitcnt lgkmcnt(0)
	v_cmp_neq_f32_e64 s[0:1], s18, 0
	v_cmp_neq_f32_e64 s[2:3], s20, 1.0
	s_or_b64 s[0:1], s[0:1], s[2:3]
	s_andn2_b64 vcc, exec, s[0:1]
	s_mov_b32 s7, 0
	s_cbranch_vccnz .LBB71_26
; %bb.5:
	s_load_dwordx2 s[0:1], s[4:5], 0x18
	s_waitcnt lgkmcnt(0)
	s_cmp_eq_u64 s[0:1], 0
	s_cbranch_scc1 .LBB71_7
; %bb.6:
	s_lshl_b64 s[2:3], s[6:7], 3
	s_add_u32 s0, s0, s2
	s_addc_u32 s1, s1, s3
	s_load_dwordx2 s[0:1], s[0:1], 0x0
	s_waitcnt lgkmcnt(0)
	s_sub_u32 s6, s0, s16
	s_subb_u32 s7, s1, 0
.LBB71_7:
	s_load_dwordx2 s[22:23], s[4:5], 0x40
	v_lshrrev_b32_e32 v2, 5, v0
	v_mov_b32_e32 v3, 0
	s_waitcnt lgkmcnt(0)
	v_cmp_gt_i64_e32 vcc, s[22:23], v[2:3]
	s_and_saveexec_b64 s[0:1], vcc
	s_cbranch_execz .LBB71_26
; %bb.8:
	s_load_dwordx8 s[8:15], s[4:5], 0x20
	s_lshl_b64 s[0:1], s[6:7], 3
	v_and_b32_e32 v0, 31, v0
	v_lshlrev_b32_e32 v4, 1, v0
	v_mov_b32_e32 v1, v3
	s_waitcnt lgkmcnt(0)
	s_add_u32 s2, s8, s0
	s_addc_u32 s3, s9, s1
	s_load_dwordx2 s[34:35], s[2:3], 0x0
	s_load_dwordx2 s[30:31], s[4:5], 0x58
	;; [unrolled: 1-line block ×3, first 2 shown]
	s_mov_b64 s[8:9], 0
	s_mul_i32 s33, s22, s22
	s_waitcnt lgkmcnt(0)
	s_sub_u32 s24, s34, s16
	s_subb_u32 s25, s35, 0
	s_add_u32 s2, s2, 8
	s_addc_u32 s3, s3, 0
	s_add_u32 s0, s10, s0
	s_addc_u32 s1, s11, s1
	s_cmp_eq_u64 s[10:11], 0
	s_cselect_b32 s1, s3, s1
	s_cselect_b32 s0, s2, s0
	s_load_dwordx2 s[28:29], s[0:1], 0x0
	s_load_dword s17, s[4:5], 0x0
	s_mul_i32 s4, s6, s23
	s_mul_hi_u32 s5, s6, s22
	v_mov_b32_e32 v6, s24
	s_waitcnt lgkmcnt(0)
	s_sub_u32 s26, s28, s16
	s_subb_u32 s27, s29, 0
	s_cmp_lg_u32 s17, 0
	v_pk_mov_b32 v[8:9], s[28:29], s[28:29] op_sel:[0,1]
	s_cselect_b64 s[28:29], -1, 0
	s_add_i32 s4, s5, s4
	s_mul_i32 s5, s7, s22
	s_add_i32 s5, s4, s5
	s_mul_i32 s4, s6, s22
	s_lshl_b64 s[4:5], s[4:5], 2
	s_add_u32 s17, s30, s4
	s_addc_u32 s19, s31, s5
	s_mul_i32 s4, s23, s24
	s_mul_i32 s5, s22, s25
	s_add_i32 s21, s5, s4
	v_mad_u64_u32 v[6:7], s[4:5], s22, v6, v[2:3]
	v_mov_b32_e32 v5, s37
	v_add_co_u32_e32 v4, vcc, s36, v4
	v_add_u32_e32 v7, s21, v7
	v_addc_co_u32_e32 v5, vcc, 0, v5, vcc
	v_mul_lo_u32 v10, s22, v7
	v_mul_lo_u32 v11, s23, v6
	v_mad_u64_u32 v[6:7], s[4:5], s22, v6, 0
	s_mul_i32 s4, s22, s23
	s_mul_hi_u32 s5, s22, s22
	v_cmp_lt_i64_e32 vcc, s[34:35], v[8:9]
	s_add_i32 s5, s5, s4
	v_cndmask_b32_e64 v8, 0, 1, vcc
	v_cmp_eq_f32_e64 s[10:11], s20, 0
	v_cmp_gt_u64_e64 s[0:1], s[22:23], v[0:1]
	v_cmp_eq_u32_e64 s[2:3], 31, v0
	s_lshl_b64 s[6:7], s[22:23], 1
	v_add3_u32 v7, v7, v10, v11
	s_lshl_b64 s[30:31], s[22:23], 5
	s_add_i32 s21, s5, s4
	v_cmp_ne_u32_e64 s[4:5], 1, v8
	s_branch .LBB71_10
.LBB71_9:                               ;   in Loop: Header=BB71_10 Depth=1
	s_or_b64 exec, exec, s[34:35]
	v_add_co_u32_e32 v2, vcc, 32, v2
	v_addc_co_u32_e32 v3, vcc, 0, v3, vcc
	v_cmp_le_i64_e32 vcc, s[22:23], v[2:3]
	v_mov_b32_e32 v8, s31
	s_or_b64 s[8:9], vcc, s[8:9]
	v_add_co_u32_e32 v6, vcc, s30, v6
	v_addc_co_u32_e32 v7, vcc, v7, v8, vcc
	s_andn2_b64 exec, exec, s[8:9]
	s_cbranch_execz .LBB71_26
.LBB71_10:                              ; =>This Loop Header: Depth=1
                                        ;     Child Loop BB71_14 Depth 2
                                        ;       Child Loop BB71_17 Depth 3
	s_and_b64 vcc, exec, s[4:5]
	v_mov_b32_e32 v16, 0
	s_cbranch_vccnz .LBB71_21
; %bb.11:                               ;   in Loop: Header=BB71_10 Depth=1
	v_mov_b32_e32 v16, 0
	v_pk_mov_b32 v[8:9], v[6:7], v[6:7] op_sel:[0,1]
	s_mov_b64 s[34:35], s[24:25]
	s_branch .LBB71_14
.LBB71_12:                              ;   in Loop: Header=BB71_14 Depth=2
	s_or_b64 exec, exec, s[38:39]
.LBB71_13:                              ;   in Loop: Header=BB71_14 Depth=2
	s_or_b64 exec, exec, s[36:37]
	s_add_u32 s34, s34, 1
	v_mov_b32_e32 v10, s21
	v_add_co_u32_e32 v8, vcc, s33, v8
	s_addc_u32 s35, s35, 0
	v_addc_co_u32_e32 v9, vcc, v9, v10, vcc
	v_pk_mov_b32 v[10:11], s[26:27], s[26:27] op_sel:[0,1]
	v_cmp_ge_i64_e32 vcc, s[34:35], v[10:11]
	s_cbranch_vccnz .LBB71_21
.LBB71_14:                              ;   Parent Loop BB71_10 Depth=1
                                        ; =>  This Loop Header: Depth=2
                                        ;       Child Loop BB71_17 Depth 3
	s_and_saveexec_b64 s[36:37], s[0:1]
	s_cbranch_execz .LBB71_13
; %bb.15:                               ;   in Loop: Header=BB71_14 Depth=2
	s_lshl_b64 s[38:39], s[34:35], 3
	s_add_u32 s38, s12, s38
	s_addc_u32 s39, s13, s39
	s_load_dwordx2 s[38:39], s[38:39], 0x0
	s_mul_i32 s40, s34, s23
	s_mul_hi_u32 s41, s34, s22
	s_mul_i32 s42, s35, s22
	s_mul_i32 s43, s34, s22
	s_waitcnt lgkmcnt(0)
	s_sub_u32 s38, s38, s16
	s_subb_u32 s39, s39, 0
	s_add_i32 s40, s41, s40
	s_add_i32 s42, s40, s42
	s_mul_i32 s40, s7, s38
	s_mul_i32 s39, s6, s39
	v_mov_b32_e32 v10, s38
	s_add_i32 s40, s39, s40
	v_mad_u64_u32 v[10:11], s[38:39], s6, v10, v[4:5]
	v_add_u32_e32 v11, s40, v11
	s_mov_b64 s[38:39], 0
	v_pk_mov_b32 v[12:13], v[0:1], v[0:1] op_sel:[0,1]
	s_branch .LBB71_17
.LBB71_16:                              ;   in Loop: Header=BB71_17 Depth=3
	v_lshlrev_b64 v[14:15], 1, v[14:15]
	v_mov_b32_e32 v17, s15
	v_add_co_u32_e32 v14, vcc, s14, v14
	v_addc_co_u32_e32 v15, vcc, v17, v15, vcc
	global_load_ushort v17, v[10:11], off
	global_load_ushort v18, v[14:15], off
	v_add_co_u32_e32 v12, vcc, 32, v12
	v_addc_co_u32_e32 v13, vcc, 0, v13, vcc
	v_cmp_le_i64_e32 vcc, s[22:23], v[12:13]
	s_or_b64 s[38:39], vcc, s[38:39]
	v_add_co_u32_e32 v10, vcc, 64, v10
	v_addc_co_u32_e32 v11, vcc, 0, v11, vcc
	s_waitcnt vmcnt(1)
	v_lshlrev_b32_e32 v14, 16, v17
	s_waitcnt vmcnt(0)
	v_lshlrev_b32_e32 v15, 16, v18
	v_fmac_f32_e32 v16, v15, v14
	s_andn2_b64 exec, exec, s[38:39]
	s_cbranch_execz .LBB71_12
.LBB71_17:                              ;   Parent Loop BB71_10 Depth=1
                                        ;     Parent Loop BB71_14 Depth=2
                                        ; =>    This Inner Loop Header: Depth=3
	s_and_b64 vcc, exec, s[28:29]
	s_cbranch_vccz .LBB71_19
; %bb.18:                               ;   in Loop: Header=BB71_17 Depth=3
	v_mov_b32_e32 v14, s42
	v_add_co_u32_e32 v15, vcc, s43, v12
	v_addc_co_u32_e32 v14, vcc, v13, v14, vcc
	v_mul_lo_u32 v17, v15, s23
	v_mul_lo_u32 v18, v14, s22
	v_mad_u64_u32 v[14:15], s[40:41], v15, s22, v[2:3]
	v_add3_u32 v15, v18, v15, v17
	s_cbranch_execnz .LBB71_16
	s_branch .LBB71_20
.LBB71_19:                              ;   in Loop: Header=BB71_17 Depth=3
                                        ; implicit-def: $vgpr14_vgpr15
.LBB71_20:                              ;   in Loop: Header=BB71_17 Depth=3
	v_add_co_u32_e32 v14, vcc, v8, v12
	v_addc_co_u32_e32 v15, vcc, v9, v13, vcc
	s_branch .LBB71_16
.LBB71_21:                              ;   in Loop: Header=BB71_10 Depth=1
	s_nop 0
	v_mov_b32_dpp v8, v16 row_shr:1 row_mask:0xf bank_mask:0xf
	v_add_f32_e32 v8, v16, v8
	s_nop 1
	v_mov_b32_dpp v9, v8 row_shr:2 row_mask:0xf bank_mask:0xf
	v_add_f32_e32 v8, v8, v9
	;; [unrolled: 3-line block ×4, first 2 shown]
	s_nop 1
	v_mov_b32_dpp v9, v8 row_bcast:15 row_mask:0xa bank_mask:0xf
	s_and_saveexec_b64 s[34:35], s[2:3]
	s_cbranch_execz .LBB71_9
; %bb.22:                               ;   in Loop: Header=BB71_10 Depth=1
	v_add_f32_e32 v8, v8, v9
	s_and_b64 vcc, exec, s[10:11]
	v_mul_f32_e32 v10, s18, v8
	v_lshlrev_b64 v[8:9], 2, v[2:3]
	s_cbranch_vccz .LBB71_24
; %bb.23:                               ;   in Loop: Header=BB71_10 Depth=1
	v_mov_b32_e32 v11, s19
	v_add_co_u32_e32 v12, vcc, s17, v8
	v_addc_co_u32_e32 v13, vcc, v11, v9, vcc
	global_store_dword v[12:13], v10, off
	s_cbranch_execnz .LBB71_9
	s_branch .LBB71_25
.LBB71_24:                              ;   in Loop: Header=BB71_10 Depth=1
.LBB71_25:                              ;   in Loop: Header=BB71_10 Depth=1
	v_mov_b32_e32 v11, s19
	v_add_co_u32_e32 v8, vcc, s17, v8
	v_addc_co_u32_e32 v9, vcc, v11, v9, vcc
	global_load_dword v11, v[8:9], off
	s_waitcnt vmcnt(0)
	v_fmac_f32_e32 v10, s20, v11
	global_store_dword v[8:9], v10, off
	s_branch .LBB71_9
.LBB71_26:
	s_endpgm
	.section	.rodata,"a",@progbits
	.p2align	6, 0x0
	.amdhsa_kernel _ZN9rocsparseL22bsrxmvn_general_kernelILj1024ELj32Efll18rocsparse_bfloat16S1_fEEv20rocsparse_direction_NS_24const_host_device_scalarIT1_EET3_PKS6_PKT2_SB_S8_PKT4_S6_PKT5_S5_PT6_21rocsparse_index_base_b
		.amdhsa_group_segment_fixed_size 0
		.amdhsa_private_segment_fixed_size 0
		.amdhsa_kernarg_size 104
		.amdhsa_user_sgpr_count 6
		.amdhsa_user_sgpr_private_segment_buffer 1
		.amdhsa_user_sgpr_dispatch_ptr 0
		.amdhsa_user_sgpr_queue_ptr 0
		.amdhsa_user_sgpr_kernarg_segment_ptr 1
		.amdhsa_user_sgpr_dispatch_id 0
		.amdhsa_user_sgpr_flat_scratch_init 0
		.amdhsa_user_sgpr_kernarg_preload_length 0
		.amdhsa_user_sgpr_kernarg_preload_offset 0
		.amdhsa_user_sgpr_private_segment_size 0
		.amdhsa_uses_dynamic_stack 0
		.amdhsa_system_sgpr_private_segment_wavefront_offset 0
		.amdhsa_system_sgpr_workgroup_id_x 1
		.amdhsa_system_sgpr_workgroup_id_y 0
		.amdhsa_system_sgpr_workgroup_id_z 0
		.amdhsa_system_sgpr_workgroup_info 0
		.amdhsa_system_vgpr_workitem_id 0
		.amdhsa_next_free_vgpr 19
		.amdhsa_next_free_sgpr 44
		.amdhsa_accum_offset 20
		.amdhsa_reserve_vcc 1
		.amdhsa_reserve_flat_scratch 0
		.amdhsa_float_round_mode_32 0
		.amdhsa_float_round_mode_16_64 0
		.amdhsa_float_denorm_mode_32 3
		.amdhsa_float_denorm_mode_16_64 3
		.amdhsa_dx10_clamp 1
		.amdhsa_ieee_mode 1
		.amdhsa_fp16_overflow 0
		.amdhsa_tg_split 0
		.amdhsa_exception_fp_ieee_invalid_op 0
		.amdhsa_exception_fp_denorm_src 0
		.amdhsa_exception_fp_ieee_div_zero 0
		.amdhsa_exception_fp_ieee_overflow 0
		.amdhsa_exception_fp_ieee_underflow 0
		.amdhsa_exception_fp_ieee_inexact 0
		.amdhsa_exception_int_div_zero 0
	.end_amdhsa_kernel
	.section	.text._ZN9rocsparseL22bsrxmvn_general_kernelILj1024ELj32Efll18rocsparse_bfloat16S1_fEEv20rocsparse_direction_NS_24const_host_device_scalarIT1_EET3_PKS6_PKT2_SB_S8_PKT4_S6_PKT5_S5_PT6_21rocsparse_index_base_b,"axG",@progbits,_ZN9rocsparseL22bsrxmvn_general_kernelILj1024ELj32Efll18rocsparse_bfloat16S1_fEEv20rocsparse_direction_NS_24const_host_device_scalarIT1_EET3_PKS6_PKT2_SB_S8_PKT4_S6_PKT5_S5_PT6_21rocsparse_index_base_b,comdat
.Lfunc_end71:
	.size	_ZN9rocsparseL22bsrxmvn_general_kernelILj1024ELj32Efll18rocsparse_bfloat16S1_fEEv20rocsparse_direction_NS_24const_host_device_scalarIT1_EET3_PKS6_PKT2_SB_S8_PKT4_S6_PKT5_S5_PT6_21rocsparse_index_base_b, .Lfunc_end71-_ZN9rocsparseL22bsrxmvn_general_kernelILj1024ELj32Efll18rocsparse_bfloat16S1_fEEv20rocsparse_direction_NS_24const_host_device_scalarIT1_EET3_PKS6_PKT2_SB_S8_PKT4_S6_PKT5_S5_PT6_21rocsparse_index_base_b
                                        ; -- End function
	.section	.AMDGPU.csdata,"",@progbits
; Kernel info:
; codeLenInByte = 1088
; NumSgprs: 48
; NumVgprs: 19
; NumAgprs: 0
; TotalNumVgprs: 19
; ScratchSize: 0
; MemoryBound: 0
; FloatMode: 240
; IeeeMode: 1
; LDSByteSize: 0 bytes/workgroup (compile time only)
; SGPRBlocks: 5
; VGPRBlocks: 2
; NumSGPRsForWavesPerEU: 48
; NumVGPRsForWavesPerEU: 19
; AccumOffset: 20
; Occupancy: 8
; WaveLimiterHint : 0
; COMPUTE_PGM_RSRC2:SCRATCH_EN: 0
; COMPUTE_PGM_RSRC2:USER_SGPR: 6
; COMPUTE_PGM_RSRC2:TRAP_HANDLER: 0
; COMPUTE_PGM_RSRC2:TGID_X_EN: 1
; COMPUTE_PGM_RSRC2:TGID_Y_EN: 0
; COMPUTE_PGM_RSRC2:TGID_Z_EN: 0
; COMPUTE_PGM_RSRC2:TIDIG_COMP_CNT: 0
; COMPUTE_PGM_RSRC3_GFX90A:ACCUM_OFFSET: 4
; COMPUTE_PGM_RSRC3_GFX90A:TG_SPLIT: 0
	.section	.text._ZN9rocsparseL22bsrxmvn_general_kernelILj64ELj8E21rocsparse_complex_numIfEiifS2_S2_EEv20rocsparse_direction_NS_24const_host_device_scalarIT1_EET3_PKS7_PKT2_SC_S9_PKT4_S7_PKT5_S6_PT6_21rocsparse_index_base_b,"axG",@progbits,_ZN9rocsparseL22bsrxmvn_general_kernelILj64ELj8E21rocsparse_complex_numIfEiifS2_S2_EEv20rocsparse_direction_NS_24const_host_device_scalarIT1_EET3_PKS7_PKT2_SC_S9_PKT4_S7_PKT5_S6_PT6_21rocsparse_index_base_b,comdat
	.globl	_ZN9rocsparseL22bsrxmvn_general_kernelILj64ELj8E21rocsparse_complex_numIfEiifS2_S2_EEv20rocsparse_direction_NS_24const_host_device_scalarIT1_EET3_PKS7_PKT2_SC_S9_PKT4_S7_PKT5_S6_PT6_21rocsparse_index_base_b ; -- Begin function _ZN9rocsparseL22bsrxmvn_general_kernelILj64ELj8E21rocsparse_complex_numIfEiifS2_S2_EEv20rocsparse_direction_NS_24const_host_device_scalarIT1_EET3_PKS7_PKT2_SC_S9_PKT4_S7_PKT5_S6_PT6_21rocsparse_index_base_b
	.p2align	8
	.type	_ZN9rocsparseL22bsrxmvn_general_kernelILj64ELj8E21rocsparse_complex_numIfEiifS2_S2_EEv20rocsparse_direction_NS_24const_host_device_scalarIT1_EET3_PKS7_PKT2_SC_S9_PKT4_S7_PKT5_S6_PT6_21rocsparse_index_base_b,@function
_ZN9rocsparseL22bsrxmvn_general_kernelILj64ELj8E21rocsparse_complex_numIfEiifS2_S2_EEv20rocsparse_direction_NS_24const_host_device_scalarIT1_EET3_PKS7_PKT2_SC_S9_PKT4_S7_PKT5_S6_PT6_21rocsparse_index_base_b: ; @_ZN9rocsparseL22bsrxmvn_general_kernelILj64ELj8E21rocsparse_complex_numIfEiifS2_S2_EEv20rocsparse_direction_NS_24const_host_device_scalarIT1_EET3_PKS7_PKT2_SC_S9_PKT4_S7_PKT5_S6_PT6_21rocsparse_index_base_b
; %bb.0:
	s_load_dwordx2 s[16:17], s[4:5], 0x60
	s_load_dwordx2 s[8:9], s[4:5], 0x8
	;; [unrolled: 1-line block ×3, first 2 shown]
	s_waitcnt lgkmcnt(0)
	s_bitcmp1_b32 s17, 0
	s_cselect_b64 s[0:1], -1, 0
	s_xor_b64 s[10:11], s[0:1], -1
	s_and_b64 vcc, exec, s[0:1]
	v_mov_b32_e32 v2, s8
	s_cbranch_vccnz .LBB72_2
; %bb.1:
	v_pk_mov_b32 v[2:3], s[8:9], s[8:9] op_sel:[0,1]
	flat_load_dword v2, v[2:3]
.LBB72_2:
	v_cndmask_b32_e64 v1, 0, 1, s[10:11]
	v_cmp_ne_u32_e64 s[0:1], 1, v1
	s_andn2_b64 vcc, exec, s[10:11]
	v_mov_b32_e32 v3, s9
	s_cbranch_vccz .LBB72_31
; %bb.3:
	s_and_b64 vcc, exec, s[0:1]
	v_mov_b32_e32 v4, s2
	s_cbranch_vccz .LBB72_32
.LBB72_4:
	s_and_b64 vcc, exec, s[0:1]
	v_mov_b32_e32 v5, s3
	s_cbranch_vccnz .LBB72_6
.LBB72_5:
	v_pk_mov_b32 v[6:7], s[2:3], s[2:3] op_sel:[0,1]
	flat_load_dword v5, v[6:7] offset:4
.LBB72_6:
	s_waitcnt vmcnt(0) lgkmcnt(0)
	v_and_b32_e32 v1, 0x7fffffff, v2
	v_cmp_eq_u32_e32 vcc, 0, v1
	v_cmp_eq_f32_e64 s[0:1], 0, v3
	s_and_b64 s[8:9], vcc, s[0:1]
	s_mov_b64 s[0:1], -1
	s_and_saveexec_b64 s[2:3], s[8:9]
; %bb.7:
	v_and_b32_e32 v1, 0x7fffffff, v5
	v_cmp_neq_f32_e32 vcc, 1.0, v4
	v_cmp_ne_u32_e64 s[0:1], 0, v1
	s_or_b64 s[0:1], vcc, s[0:1]
	s_orn2_b64 s[0:1], s[0:1], exec
; %bb.8:
	s_or_b64 exec, exec, s[2:3]
	s_and_saveexec_b64 s[2:3], s[0:1]
	s_cbranch_execz .LBB72_30
; %bb.9:
	s_load_dwordx2 s[0:1], s[4:5], 0x18
	s_waitcnt lgkmcnt(0)
	s_cmp_eq_u64 s[0:1], 0
	s_cbranch_scc1 .LBB72_11
; %bb.10:
	s_ashr_i32 s7, s6, 31
	s_lshl_b64 s[2:3], s[6:7], 2
	s_add_u32 s0, s0, s2
	s_addc_u32 s1, s1, s3
	s_load_dword s0, s[0:1], 0x0
	s_waitcnt lgkmcnt(0)
	s_sub_i32 s6, s0, s16
.LBB72_11:
	s_load_dword s17, s[4:5], 0x40
	v_lshrrev_b32_e32 v6, 3, v0
	s_waitcnt lgkmcnt(0)
	v_cmp_gt_i32_e32 vcc, s17, v6
	s_and_b64 exec, exec, vcc
	s_cbranch_execz .LBB72_30
; %bb.12:
	s_load_dwordx8 s[8:15], s[4:5], 0x20
	s_ashr_i32 s7, s6, 31
	s_lshl_b64 s[0:1], s[6:7], 2
	v_and_b32_e32 v1, 0x7fffffff, v4
	s_mul_hi_u32 s34, s17, s17
	s_waitcnt lgkmcnt(0)
	s_add_u32 s2, s8, s0
	s_addc_u32 s3, s9, s1
	s_load_dword s7, s[2:3], 0x0
	s_load_dwordx2 s[8:9], s[4:5], 0x58
	s_load_dwordx2 s[18:19], s[4:5], 0x48
	s_mul_i32 s36, s17, s17
	v_cmp_eq_u32_e32 vcc, 0, v1
	s_waitcnt lgkmcnt(0)
	s_sub_i32 s33, s7, s16
	s_add_u32 s2, s2, 4
	s_addc_u32 s3, s3, 0
	s_add_u32 s0, s10, s0
	s_addc_u32 s1, s11, s1
	s_cmp_eq_u64 s[10:11], 0
	s_cselect_b32 s1, s3, s1
	s_cselect_b32 s0, s2, s0
	s_load_dword s2, s[0:1], 0x0
	s_load_dword s3, s[4:5], 0x0
	v_cmp_eq_f32_e64 s[4:5], 0, v5
	v_and_b32_e32 v0, 7, v0
	s_mul_i32 s37, s6, s17
	s_waitcnt lgkmcnt(0)
	s_sub_i32 s35, s2, s16
	s_cmp_lt_i32 s7, s2
	s_cselect_b64 s[26:27], -1, 0
	s_cmp_lg_u32 s3, 0
	s_cselect_b64 s[22:23], -1, 0
	s_and_b64 s[24:25], vcc, s[4:5]
	s_ashr_i32 s4, s33, 31
	s_mul_i32 s5, s33, s34
	s_mul_hi_u32 s6, s33, s36
	v_mov_b32_e32 v1, 0
	v_cmp_gt_u32_e64 s[0:1], s17, v0
	v_cmp_eq_u32_e64 s[2:3], 7, v0
	s_add_i32 s5, s6, s5
	s_mul_i32 s4, s4, s36
	v_pk_mov_b32 v[12:13], v[0:1], v[0:1] op_sel:[0,1]
	v_mul_lo_u32 v27, s17, v0
	v_cndmask_b32_e64 v0, 0, 1, s[26:27]
	s_mov_b64 s[20:21], 0
	s_mov_b32 s10, 0
	v_xor_b32_e32 v8, 0x80000000, v3
	v_xor_b32_e32 v10, 0x80000000, v5
	v_mov_b32_e32 v9, v2
	v_mov_b32_e32 v11, v4
	s_add_i32 s38, s5, s4
	s_mul_i32 s39, s33, s36
	v_mul_lo_u32 v26, s17, v6
	s_lshl_b32 s40, s17, 3
	v_cmp_ne_u32_e64 s[4:5], 1, v0
	v_bfrev_b32_e32 v14, 1
	s_branch .LBB72_14
.LBB72_13:                              ;   in Loop: Header=BB72_14 Depth=1
	s_or_b64 exec, exec, s[6:7]
	v_add_u32_e32 v6, 8, v6
	v_cmp_le_i32_e32 vcc, s17, v6
	s_or_b64 s[20:21], vcc, s[20:21]
	v_add_u32_e32 v26, s40, v26
	s_andn2_b64 exec, exec, s[20:21]
	s_cbranch_execz .LBB72_30
.LBB72_14:                              ; =>This Loop Header: Depth=1
                                        ;     Child Loop BB72_18 Depth 2
                                        ;       Child Loop BB72_21 Depth 3
	s_mov_b32 s11, s10
	s_and_b64 vcc, exec, s[4:5]
	v_pk_mov_b32 v[16:17], s[10:11], s[10:11] op_sel:[0,1]
	s_cbranch_vccnz .LBB72_25
; %bb.15:                               ;   in Loop: Header=BB72_14 Depth=1
	v_ashrrev_i32_e32 v0, 31, v26
	v_mov_b32_e32 v7, s38
	v_add_co_u32_e32 v18, vcc, s39, v26
	v_addc_co_u32_e32 v19, vcc, v7, v0, vcc
	v_ashrrev_i32_e32 v7, 31, v6
	v_pk_mov_b32 v[16:17], s[10:11], s[10:11] op_sel:[0,1]
	s_mov_b32 s6, s33
	s_branch .LBB72_18
.LBB72_16:                              ;   in Loop: Header=BB72_18 Depth=2
	s_or_b64 exec, exec, s[28:29]
.LBB72_17:                              ;   in Loop: Header=BB72_18 Depth=2
	s_or_b64 exec, exec, s[26:27]
	s_add_i32 s6, s6, 1
	v_mov_b32_e32 v0, s34
	v_add_co_u32_e32 v18, vcc, s36, v18
	s_cmp_ge_i32 s6, s35
	v_addc_co_u32_e32 v19, vcc, v19, v0, vcc
	s_cbranch_scc1 .LBB72_25
.LBB72_18:                              ;   Parent Loop BB72_14 Depth=1
                                        ; =>  This Loop Header: Depth=2
                                        ;       Child Loop BB72_21 Depth 3
	s_and_saveexec_b64 s[26:27], s[0:1]
	s_cbranch_execz .LBB72_17
; %bb.19:                               ;   in Loop: Header=BB72_18 Depth=2
	s_ashr_i32 s7, s6, 31
	s_lshl_b64 s[28:29], s[6:7], 2
	s_add_u32 s28, s12, s28
	s_addc_u32 s29, s13, s29
	s_load_dword s11, s[28:29], 0x0
	s_mul_i32 s28, s34, s6
	v_mov_b32_e32 v0, s6
	s_mul_i32 s7, s36, s7
	s_add_i32 s7, s7, s28
	s_waitcnt lgkmcnt(0)
	s_sub_i32 s11, s11, s16
	v_mad_u64_u32 v[20:21], s[28:29], s36, v0, v[6:7]
	v_add_u32_e32 v21, s7, v21
	s_mul_i32 s7, s11, s17
	s_mov_b64 s[28:29], 0
	v_mov_b32_e32 v28, v27
	v_pk_mov_b32 v[22:23], v[12:13], v[12:13] op_sel:[0,1]
	s_branch .LBB72_21
.LBB72_20:                              ;   in Loop: Header=BB72_21 Depth=3
	v_lshlrev_b64 v[24:25], 2, v[24:25]
	v_mov_b32_e32 v0, s15
	v_add_co_u32_e32 v24, vcc, s14, v24
	v_addc_co_u32_e32 v25, vcc, v0, v25, vcc
	global_load_dword v0, v[24:25], off
	v_add_u32_e32 v24, s7, v22
	v_ashrrev_i32_e32 v25, 31, v24
	v_lshlrev_b64 v[24:25], 3, v[24:25]
	v_mov_b32_e32 v15, s19
	v_add_co_u32_e32 v24, vcc, s18, v24
	v_addc_co_u32_e32 v25, vcc, v15, v25, vcc
	global_load_dwordx2 v[24:25], v[24:25], off
	v_add_co_u32_e32 v22, vcc, 8, v22
	v_addc_co_u32_e32 v23, vcc, 0, v23, vcc
	v_cmp_le_i32_e32 vcc, s17, v22
	s_or_b64 s[28:29], vcc, s[28:29]
	v_add_u32_e32 v28, s40, v28
	s_waitcnt vmcnt(1)
	v_mov_b32_e32 v15, v0
	s_waitcnt vmcnt(0)
	v_pk_fma_f32 v[16:17], v[24:25], v[0:1], v[16:17] op_sel_hi:[0,1,1]
	v_pk_fma_f32 v[16:17], v[24:25], v[14:15], v[16:17] op_sel:[1,0,0]
	s_andn2_b64 exec, exec, s[28:29]
	s_cbranch_execz .LBB72_16
.LBB72_21:                              ;   Parent Loop BB72_14 Depth=1
                                        ;     Parent Loop BB72_18 Depth=2
                                        ; =>    This Inner Loop Header: Depth=3
	s_and_b64 vcc, exec, s[22:23]
	s_cbranch_vccz .LBB72_23
; %bb.22:                               ;   in Loop: Header=BB72_21 Depth=3
	v_ashrrev_i32_e32 v0, 31, v28
	v_add_co_u32_e32 v24, vcc, v20, v28
	v_addc_co_u32_e32 v25, vcc, v21, v0, vcc
	s_cbranch_execnz .LBB72_20
	s_branch .LBB72_24
.LBB72_23:                              ;   in Loop: Header=BB72_21 Depth=3
                                        ; implicit-def: $vgpr24_vgpr25
.LBB72_24:                              ;   in Loop: Header=BB72_21 Depth=3
	v_add_co_u32_e32 v24, vcc, v18, v22
	v_addc_co_u32_e32 v25, vcc, v19, v23, vcc
	s_branch .LBB72_20
.LBB72_25:                              ;   in Loop: Header=BB72_14 Depth=1
	s_nop 0
	v_mov_b32_dpp v0, v16 row_shr:1 row_mask:0xf bank_mask:0xf
	v_mov_b32_dpp v15, v17 row_shr:1 row_mask:0xf bank_mask:0xf
	v_add_f32_e32 v0, v16, v0
	v_add_f32_e32 v15, v17, v15
	s_nop 0
	v_mov_b32_dpp v7, v0 row_shr:2 row_mask:0xf bank_mask:0xf
	v_mov_b32_dpp v16, v15 row_shr:2 row_mask:0xf bank_mask:0xf
	v_add_f32_e32 v0, v0, v7
	v_add_f32_e32 v15, v15, v16
	s_nop 0
	v_mov_b32_dpp v7, v0 row_shr:4 row_mask:0xf bank_mask:0xe
	v_mov_b32_dpp v16, v15 row_shr:4 row_mask:0xf bank_mask:0xe
	s_and_saveexec_b64 s[6:7], s[2:3]
	s_cbranch_execz .LBB72_13
; %bb.26:                               ;   in Loop: Header=BB72_14 Depth=1
	v_add_u32_e32 v18, s37, v6
	v_add_f32_e32 v0, v0, v7
	v_add_f32_e32 v16, v15, v16
	v_ashrrev_i32_e32 v19, 31, v18
	s_and_saveexec_b64 s[26:27], s[24:25]
	s_xor_b64 s[26:27], exec, s[26:27]
	s_cbranch_execz .LBB72_28
; %bb.27:                               ;   in Loop: Header=BB72_14 Depth=1
	v_lshlrev_b64 v[18:19], 3, v[18:19]
	v_mov_b32_e32 v7, s9
	v_add_co_u32_e32 v18, vcc, s8, v18
	v_pk_mul_f32 v[16:17], v[16:17], v[8:9] op_sel_hi:[0,1]
	v_addc_co_u32_e32 v19, vcc, v7, v19, vcc
	v_pk_fma_f32 v[16:17], v[2:3], v[0:1], v[16:17] op_sel_hi:[1,0,1]
	global_store_dwordx2 v[18:19], v[16:17], off
                                        ; implicit-def: $vgpr18
                                        ; implicit-def: $vgpr16
                                        ; implicit-def: $vgpr0
.LBB72_28:                              ;   in Loop: Header=BB72_14 Depth=1
	s_andn2_saveexec_b64 s[26:27], s[26:27]
	s_cbranch_execz .LBB72_13
; %bb.29:                               ;   in Loop: Header=BB72_14 Depth=1
	v_lshlrev_b64 v[18:19], 3, v[18:19]
	v_mov_b32_e32 v7, s9
	v_add_co_u32_e32 v18, vcc, s8, v18
	v_addc_co_u32_e32 v19, vcc, v7, v19, vcc
	global_load_dwordx2 v[20:21], v[18:19], off
	v_pk_mul_f32 v[16:17], v[16:17], v[8:9] op_sel_hi:[0,1]
	v_pk_fma_f32 v[16:17], v[2:3], v[0:1], v[16:17] op_sel_hi:[1,0,1]
	s_waitcnt vmcnt(0)
	v_pk_fma_f32 v[16:17], v[4:5], v[20:21], v[16:17] op_sel_hi:[1,0,1]
	v_pk_fma_f32 v[16:17], v[10:11], v[20:21], v[16:17] op_sel:[0,1,0]
	global_store_dwordx2 v[18:19], v[16:17], off
	s_branch .LBB72_13
.LBB72_30:
	s_endpgm
.LBB72_31:
	v_pk_mov_b32 v[4:5], s[8:9], s[8:9] op_sel:[0,1]
	flat_load_dword v3, v[4:5] offset:4
	s_and_b64 vcc, exec, s[0:1]
	v_mov_b32_e32 v4, s2
	s_cbranch_vccnz .LBB72_4
.LBB72_32:
	v_pk_mov_b32 v[4:5], s[2:3], s[2:3] op_sel:[0,1]
	flat_load_dword v4, v[4:5]
	s_and_b64 vcc, exec, s[0:1]
	v_mov_b32_e32 v5, s3
	s_cbranch_vccz .LBB72_5
	s_branch .LBB72_6
	.section	.rodata,"a",@progbits
	.p2align	6, 0x0
	.amdhsa_kernel _ZN9rocsparseL22bsrxmvn_general_kernelILj64ELj8E21rocsparse_complex_numIfEiifS2_S2_EEv20rocsparse_direction_NS_24const_host_device_scalarIT1_EET3_PKS7_PKT2_SC_S9_PKT4_S7_PKT5_S6_PT6_21rocsparse_index_base_b
		.amdhsa_group_segment_fixed_size 0
		.amdhsa_private_segment_fixed_size 0
		.amdhsa_kernarg_size 104
		.amdhsa_user_sgpr_count 6
		.amdhsa_user_sgpr_private_segment_buffer 1
		.amdhsa_user_sgpr_dispatch_ptr 0
		.amdhsa_user_sgpr_queue_ptr 0
		.amdhsa_user_sgpr_kernarg_segment_ptr 1
		.amdhsa_user_sgpr_dispatch_id 0
		.amdhsa_user_sgpr_flat_scratch_init 0
		.amdhsa_user_sgpr_kernarg_preload_length 0
		.amdhsa_user_sgpr_kernarg_preload_offset 0
		.amdhsa_user_sgpr_private_segment_size 0
		.amdhsa_uses_dynamic_stack 0
		.amdhsa_system_sgpr_private_segment_wavefront_offset 0
		.amdhsa_system_sgpr_workgroup_id_x 1
		.amdhsa_system_sgpr_workgroup_id_y 0
		.amdhsa_system_sgpr_workgroup_id_z 0
		.amdhsa_system_sgpr_workgroup_info 0
		.amdhsa_system_vgpr_workitem_id 0
		.amdhsa_next_free_vgpr 29
		.amdhsa_next_free_sgpr 41
		.amdhsa_accum_offset 32
		.amdhsa_reserve_vcc 1
		.amdhsa_reserve_flat_scratch 0
		.amdhsa_float_round_mode_32 0
		.amdhsa_float_round_mode_16_64 0
		.amdhsa_float_denorm_mode_32 3
		.amdhsa_float_denorm_mode_16_64 3
		.amdhsa_dx10_clamp 1
		.amdhsa_ieee_mode 1
		.amdhsa_fp16_overflow 0
		.amdhsa_tg_split 0
		.amdhsa_exception_fp_ieee_invalid_op 0
		.amdhsa_exception_fp_denorm_src 0
		.amdhsa_exception_fp_ieee_div_zero 0
		.amdhsa_exception_fp_ieee_overflow 0
		.amdhsa_exception_fp_ieee_underflow 0
		.amdhsa_exception_fp_ieee_inexact 0
		.amdhsa_exception_int_div_zero 0
	.end_amdhsa_kernel
	.section	.text._ZN9rocsparseL22bsrxmvn_general_kernelILj64ELj8E21rocsparse_complex_numIfEiifS2_S2_EEv20rocsparse_direction_NS_24const_host_device_scalarIT1_EET3_PKS7_PKT2_SC_S9_PKT4_S7_PKT5_S6_PT6_21rocsparse_index_base_b,"axG",@progbits,_ZN9rocsparseL22bsrxmvn_general_kernelILj64ELj8E21rocsparse_complex_numIfEiifS2_S2_EEv20rocsparse_direction_NS_24const_host_device_scalarIT1_EET3_PKS7_PKT2_SC_S9_PKT4_S7_PKT5_S6_PT6_21rocsparse_index_base_b,comdat
.Lfunc_end72:
	.size	_ZN9rocsparseL22bsrxmvn_general_kernelILj64ELj8E21rocsparse_complex_numIfEiifS2_S2_EEv20rocsparse_direction_NS_24const_host_device_scalarIT1_EET3_PKS7_PKT2_SC_S9_PKT4_S7_PKT5_S6_PT6_21rocsparse_index_base_b, .Lfunc_end72-_ZN9rocsparseL22bsrxmvn_general_kernelILj64ELj8E21rocsparse_complex_numIfEiifS2_S2_EEv20rocsparse_direction_NS_24const_host_device_scalarIT1_EET3_PKS7_PKT2_SC_S9_PKT4_S7_PKT5_S6_PT6_21rocsparse_index_base_b
                                        ; -- End function
	.section	.AMDGPU.csdata,"",@progbits
; Kernel info:
; codeLenInByte = 1264
; NumSgprs: 45
; NumVgprs: 29
; NumAgprs: 0
; TotalNumVgprs: 29
; ScratchSize: 0
; MemoryBound: 0
; FloatMode: 240
; IeeeMode: 1
; LDSByteSize: 0 bytes/workgroup (compile time only)
; SGPRBlocks: 5
; VGPRBlocks: 3
; NumSGPRsForWavesPerEU: 45
; NumVGPRsForWavesPerEU: 29
; AccumOffset: 32
; Occupancy: 8
; WaveLimiterHint : 1
; COMPUTE_PGM_RSRC2:SCRATCH_EN: 0
; COMPUTE_PGM_RSRC2:USER_SGPR: 6
; COMPUTE_PGM_RSRC2:TRAP_HANDLER: 0
; COMPUTE_PGM_RSRC2:TGID_X_EN: 1
; COMPUTE_PGM_RSRC2:TGID_Y_EN: 0
; COMPUTE_PGM_RSRC2:TGID_Z_EN: 0
; COMPUTE_PGM_RSRC2:TIDIG_COMP_CNT: 0
; COMPUTE_PGM_RSRC3_GFX90A:ACCUM_OFFSET: 7
; COMPUTE_PGM_RSRC3_GFX90A:TG_SPLIT: 0
	.section	.text._ZN9rocsparseL22bsrxmvn_general_kernelILj256ELj16E21rocsparse_complex_numIfEiifS2_S2_EEv20rocsparse_direction_NS_24const_host_device_scalarIT1_EET3_PKS7_PKT2_SC_S9_PKT4_S7_PKT5_S6_PT6_21rocsparse_index_base_b,"axG",@progbits,_ZN9rocsparseL22bsrxmvn_general_kernelILj256ELj16E21rocsparse_complex_numIfEiifS2_S2_EEv20rocsparse_direction_NS_24const_host_device_scalarIT1_EET3_PKS7_PKT2_SC_S9_PKT4_S7_PKT5_S6_PT6_21rocsparse_index_base_b,comdat
	.globl	_ZN9rocsparseL22bsrxmvn_general_kernelILj256ELj16E21rocsparse_complex_numIfEiifS2_S2_EEv20rocsparse_direction_NS_24const_host_device_scalarIT1_EET3_PKS7_PKT2_SC_S9_PKT4_S7_PKT5_S6_PT6_21rocsparse_index_base_b ; -- Begin function _ZN9rocsparseL22bsrxmvn_general_kernelILj256ELj16E21rocsparse_complex_numIfEiifS2_S2_EEv20rocsparse_direction_NS_24const_host_device_scalarIT1_EET3_PKS7_PKT2_SC_S9_PKT4_S7_PKT5_S6_PT6_21rocsparse_index_base_b
	.p2align	8
	.type	_ZN9rocsparseL22bsrxmvn_general_kernelILj256ELj16E21rocsparse_complex_numIfEiifS2_S2_EEv20rocsparse_direction_NS_24const_host_device_scalarIT1_EET3_PKS7_PKT2_SC_S9_PKT4_S7_PKT5_S6_PT6_21rocsparse_index_base_b,@function
_ZN9rocsparseL22bsrxmvn_general_kernelILj256ELj16E21rocsparse_complex_numIfEiifS2_S2_EEv20rocsparse_direction_NS_24const_host_device_scalarIT1_EET3_PKS7_PKT2_SC_S9_PKT4_S7_PKT5_S6_PT6_21rocsparse_index_base_b: ; @_ZN9rocsparseL22bsrxmvn_general_kernelILj256ELj16E21rocsparse_complex_numIfEiifS2_S2_EEv20rocsparse_direction_NS_24const_host_device_scalarIT1_EET3_PKS7_PKT2_SC_S9_PKT4_S7_PKT5_S6_PT6_21rocsparse_index_base_b
; %bb.0:
	s_load_dwordx2 s[16:17], s[4:5], 0x60
	s_load_dwordx2 s[8:9], s[4:5], 0x8
	;; [unrolled: 1-line block ×3, first 2 shown]
	s_waitcnt lgkmcnt(0)
	s_bitcmp1_b32 s17, 0
	s_cselect_b64 s[0:1], -1, 0
	s_xor_b64 s[10:11], s[0:1], -1
	s_and_b64 vcc, exec, s[0:1]
	v_mov_b32_e32 v2, s8
	s_cbranch_vccnz .LBB73_2
; %bb.1:
	v_pk_mov_b32 v[2:3], s[8:9], s[8:9] op_sel:[0,1]
	flat_load_dword v2, v[2:3]
.LBB73_2:
	v_cndmask_b32_e64 v1, 0, 1, s[10:11]
	v_cmp_ne_u32_e64 s[0:1], 1, v1
	s_andn2_b64 vcc, exec, s[10:11]
	v_mov_b32_e32 v3, s9
	s_cbranch_vccz .LBB73_31
; %bb.3:
	s_and_b64 vcc, exec, s[0:1]
	v_mov_b32_e32 v4, s2
	s_cbranch_vccz .LBB73_32
.LBB73_4:
	s_and_b64 vcc, exec, s[0:1]
	v_mov_b32_e32 v5, s3
	s_cbranch_vccnz .LBB73_6
.LBB73_5:
	v_pk_mov_b32 v[6:7], s[2:3], s[2:3] op_sel:[0,1]
	flat_load_dword v5, v[6:7] offset:4
.LBB73_6:
	s_waitcnt vmcnt(0) lgkmcnt(0)
	v_and_b32_e32 v1, 0x7fffffff, v2
	v_cmp_eq_u32_e32 vcc, 0, v1
	v_cmp_eq_f32_e64 s[0:1], 0, v3
	s_and_b64 s[8:9], vcc, s[0:1]
	s_mov_b64 s[0:1], -1
	s_and_saveexec_b64 s[2:3], s[8:9]
; %bb.7:
	v_and_b32_e32 v1, 0x7fffffff, v5
	v_cmp_neq_f32_e32 vcc, 1.0, v4
	v_cmp_ne_u32_e64 s[0:1], 0, v1
	s_or_b64 s[0:1], vcc, s[0:1]
	s_orn2_b64 s[0:1], s[0:1], exec
; %bb.8:
	s_or_b64 exec, exec, s[2:3]
	s_and_saveexec_b64 s[2:3], s[0:1]
	s_cbranch_execz .LBB73_30
; %bb.9:
	s_load_dwordx2 s[0:1], s[4:5], 0x18
	s_waitcnt lgkmcnt(0)
	s_cmp_eq_u64 s[0:1], 0
	s_cbranch_scc1 .LBB73_11
; %bb.10:
	s_ashr_i32 s7, s6, 31
	s_lshl_b64 s[2:3], s[6:7], 2
	s_add_u32 s0, s0, s2
	s_addc_u32 s1, s1, s3
	s_load_dword s0, s[0:1], 0x0
	s_waitcnt lgkmcnt(0)
	s_sub_i32 s6, s0, s16
.LBB73_11:
	s_load_dword s17, s[4:5], 0x40
	v_lshrrev_b32_e32 v6, 4, v0
	s_waitcnt lgkmcnt(0)
	v_cmp_gt_i32_e32 vcc, s17, v6
	s_and_b64 exec, exec, vcc
	s_cbranch_execz .LBB73_30
; %bb.12:
	s_load_dwordx8 s[8:15], s[4:5], 0x20
	s_ashr_i32 s7, s6, 31
	s_lshl_b64 s[0:1], s[6:7], 2
	v_and_b32_e32 v1, 0x7fffffff, v4
	s_mul_hi_u32 s34, s17, s17
	s_waitcnt lgkmcnt(0)
	s_add_u32 s2, s8, s0
	s_addc_u32 s3, s9, s1
	s_load_dword s7, s[2:3], 0x0
	s_load_dwordx2 s[8:9], s[4:5], 0x58
	s_load_dwordx2 s[18:19], s[4:5], 0x48
	s_mul_i32 s36, s17, s17
	v_cmp_eq_u32_e32 vcc, 0, v1
	s_waitcnt lgkmcnt(0)
	s_sub_i32 s33, s7, s16
	s_add_u32 s2, s2, 4
	s_addc_u32 s3, s3, 0
	s_add_u32 s0, s10, s0
	s_addc_u32 s1, s11, s1
	s_cmp_eq_u64 s[10:11], 0
	s_cselect_b32 s1, s3, s1
	s_cselect_b32 s0, s2, s0
	s_load_dword s2, s[0:1], 0x0
	s_load_dword s3, s[4:5], 0x0
	v_cmp_eq_f32_e64 s[4:5], 0, v5
	v_and_b32_e32 v0, 15, v0
	s_mul_i32 s37, s6, s17
	s_waitcnt lgkmcnt(0)
	s_sub_i32 s35, s2, s16
	s_cmp_lt_i32 s7, s2
	s_cselect_b64 s[26:27], -1, 0
	s_cmp_lg_u32 s3, 0
	s_cselect_b64 s[22:23], -1, 0
	s_and_b64 s[24:25], vcc, s[4:5]
	s_ashr_i32 s4, s33, 31
	s_mul_i32 s5, s33, s34
	s_mul_hi_u32 s6, s33, s36
	v_mov_b32_e32 v1, 0
	v_cmp_gt_u32_e64 s[0:1], s17, v0
	v_cmp_eq_u32_e64 s[2:3], 15, v0
	s_add_i32 s5, s6, s5
	s_mul_i32 s4, s4, s36
	v_pk_mov_b32 v[12:13], v[0:1], v[0:1] op_sel:[0,1]
	v_mul_lo_u32 v27, s17, v0
	v_cndmask_b32_e64 v0, 0, 1, s[26:27]
	s_mov_b64 s[20:21], 0
	s_mov_b32 s10, 0
	v_xor_b32_e32 v8, 0x80000000, v3
	v_xor_b32_e32 v10, 0x80000000, v5
	v_mov_b32_e32 v9, v2
	v_mov_b32_e32 v11, v4
	s_add_i32 s38, s5, s4
	s_mul_i32 s39, s33, s36
	v_mul_lo_u32 v26, s17, v6
	s_lshl_b32 s40, s17, 4
	v_cmp_ne_u32_e64 s[4:5], 1, v0
	v_bfrev_b32_e32 v14, 1
	s_branch .LBB73_14
.LBB73_13:                              ;   in Loop: Header=BB73_14 Depth=1
	s_or_b64 exec, exec, s[6:7]
	v_add_u32_e32 v6, 16, v6
	v_cmp_le_i32_e32 vcc, s17, v6
	s_or_b64 s[20:21], vcc, s[20:21]
	v_add_u32_e32 v26, s40, v26
	s_andn2_b64 exec, exec, s[20:21]
	s_cbranch_execz .LBB73_30
.LBB73_14:                              ; =>This Loop Header: Depth=1
                                        ;     Child Loop BB73_18 Depth 2
                                        ;       Child Loop BB73_21 Depth 3
	s_mov_b32 s11, s10
	s_and_b64 vcc, exec, s[4:5]
	v_pk_mov_b32 v[16:17], s[10:11], s[10:11] op_sel:[0,1]
	s_cbranch_vccnz .LBB73_25
; %bb.15:                               ;   in Loop: Header=BB73_14 Depth=1
	v_ashrrev_i32_e32 v0, 31, v26
	v_mov_b32_e32 v7, s38
	v_add_co_u32_e32 v18, vcc, s39, v26
	v_addc_co_u32_e32 v19, vcc, v7, v0, vcc
	v_ashrrev_i32_e32 v7, 31, v6
	v_pk_mov_b32 v[16:17], s[10:11], s[10:11] op_sel:[0,1]
	s_mov_b32 s6, s33
	s_branch .LBB73_18
.LBB73_16:                              ;   in Loop: Header=BB73_18 Depth=2
	s_or_b64 exec, exec, s[28:29]
.LBB73_17:                              ;   in Loop: Header=BB73_18 Depth=2
	s_or_b64 exec, exec, s[26:27]
	s_add_i32 s6, s6, 1
	v_mov_b32_e32 v0, s34
	v_add_co_u32_e32 v18, vcc, s36, v18
	s_cmp_ge_i32 s6, s35
	v_addc_co_u32_e32 v19, vcc, v19, v0, vcc
	s_cbranch_scc1 .LBB73_25
.LBB73_18:                              ;   Parent Loop BB73_14 Depth=1
                                        ; =>  This Loop Header: Depth=2
                                        ;       Child Loop BB73_21 Depth 3
	s_and_saveexec_b64 s[26:27], s[0:1]
	s_cbranch_execz .LBB73_17
; %bb.19:                               ;   in Loop: Header=BB73_18 Depth=2
	s_ashr_i32 s7, s6, 31
	s_lshl_b64 s[28:29], s[6:7], 2
	s_add_u32 s28, s12, s28
	s_addc_u32 s29, s13, s29
	s_load_dword s11, s[28:29], 0x0
	s_mul_i32 s28, s34, s6
	v_mov_b32_e32 v0, s6
	s_mul_i32 s7, s36, s7
	s_add_i32 s7, s7, s28
	s_waitcnt lgkmcnt(0)
	s_sub_i32 s11, s11, s16
	v_mad_u64_u32 v[20:21], s[28:29], s36, v0, v[6:7]
	v_add_u32_e32 v21, s7, v21
	s_mul_i32 s7, s11, s17
	s_mov_b64 s[28:29], 0
	v_mov_b32_e32 v28, v27
	v_pk_mov_b32 v[22:23], v[12:13], v[12:13] op_sel:[0,1]
	s_branch .LBB73_21
.LBB73_20:                              ;   in Loop: Header=BB73_21 Depth=3
	v_lshlrev_b64 v[24:25], 2, v[24:25]
	v_mov_b32_e32 v0, s15
	v_add_co_u32_e32 v24, vcc, s14, v24
	v_addc_co_u32_e32 v25, vcc, v0, v25, vcc
	global_load_dword v0, v[24:25], off
	v_add_u32_e32 v24, s7, v22
	v_ashrrev_i32_e32 v25, 31, v24
	v_lshlrev_b64 v[24:25], 3, v[24:25]
	v_mov_b32_e32 v15, s19
	v_add_co_u32_e32 v24, vcc, s18, v24
	v_addc_co_u32_e32 v25, vcc, v15, v25, vcc
	global_load_dwordx2 v[24:25], v[24:25], off
	v_add_co_u32_e32 v22, vcc, 16, v22
	v_addc_co_u32_e32 v23, vcc, 0, v23, vcc
	v_cmp_le_i32_e32 vcc, s17, v22
	s_or_b64 s[28:29], vcc, s[28:29]
	v_add_u32_e32 v28, s40, v28
	s_waitcnt vmcnt(1)
	v_mov_b32_e32 v15, v0
	s_waitcnt vmcnt(0)
	v_pk_fma_f32 v[16:17], v[24:25], v[0:1], v[16:17] op_sel_hi:[0,1,1]
	v_pk_fma_f32 v[16:17], v[24:25], v[14:15], v[16:17] op_sel:[1,0,0]
	s_andn2_b64 exec, exec, s[28:29]
	s_cbranch_execz .LBB73_16
.LBB73_21:                              ;   Parent Loop BB73_14 Depth=1
                                        ;     Parent Loop BB73_18 Depth=2
                                        ; =>    This Inner Loop Header: Depth=3
	s_and_b64 vcc, exec, s[22:23]
	s_cbranch_vccz .LBB73_23
; %bb.22:                               ;   in Loop: Header=BB73_21 Depth=3
	v_ashrrev_i32_e32 v0, 31, v28
	v_add_co_u32_e32 v24, vcc, v20, v28
	v_addc_co_u32_e32 v25, vcc, v21, v0, vcc
	s_cbranch_execnz .LBB73_20
	s_branch .LBB73_24
.LBB73_23:                              ;   in Loop: Header=BB73_21 Depth=3
                                        ; implicit-def: $vgpr24_vgpr25
.LBB73_24:                              ;   in Loop: Header=BB73_21 Depth=3
	v_add_co_u32_e32 v24, vcc, v18, v22
	v_addc_co_u32_e32 v25, vcc, v19, v23, vcc
	s_branch .LBB73_20
.LBB73_25:                              ;   in Loop: Header=BB73_14 Depth=1
	s_nop 0
	v_mov_b32_dpp v0, v16 row_shr:1 row_mask:0xf bank_mask:0xf
	v_mov_b32_dpp v15, v17 row_shr:1 row_mask:0xf bank_mask:0xf
	v_add_f32_e32 v0, v16, v0
	v_add_f32_e32 v15, v17, v15
	s_nop 0
	v_mov_b32_dpp v7, v0 row_shr:2 row_mask:0xf bank_mask:0xf
	v_mov_b32_dpp v16, v15 row_shr:2 row_mask:0xf bank_mask:0xf
	v_add_f32_e32 v0, v0, v7
	v_add_f32_e32 v15, v15, v16
	;; [unrolled: 5-line block ×3, first 2 shown]
	s_nop 0
	v_mov_b32_dpp v7, v0 row_shr:8 row_mask:0xf bank_mask:0xc
	v_mov_b32_dpp v16, v15 row_shr:8 row_mask:0xf bank_mask:0xc
	s_and_saveexec_b64 s[6:7], s[2:3]
	s_cbranch_execz .LBB73_13
; %bb.26:                               ;   in Loop: Header=BB73_14 Depth=1
	v_add_u32_e32 v18, s37, v6
	v_add_f32_e32 v0, v0, v7
	v_add_f32_e32 v16, v15, v16
	v_ashrrev_i32_e32 v19, 31, v18
	s_and_saveexec_b64 s[26:27], s[24:25]
	s_xor_b64 s[26:27], exec, s[26:27]
	s_cbranch_execz .LBB73_28
; %bb.27:                               ;   in Loop: Header=BB73_14 Depth=1
	v_lshlrev_b64 v[18:19], 3, v[18:19]
	v_mov_b32_e32 v7, s9
	v_add_co_u32_e32 v18, vcc, s8, v18
	v_pk_mul_f32 v[16:17], v[16:17], v[8:9] op_sel_hi:[0,1]
	v_addc_co_u32_e32 v19, vcc, v7, v19, vcc
	v_pk_fma_f32 v[16:17], v[2:3], v[0:1], v[16:17] op_sel_hi:[1,0,1]
	global_store_dwordx2 v[18:19], v[16:17], off
                                        ; implicit-def: $vgpr18
                                        ; implicit-def: $vgpr16
                                        ; implicit-def: $vgpr0
.LBB73_28:                              ;   in Loop: Header=BB73_14 Depth=1
	s_andn2_saveexec_b64 s[26:27], s[26:27]
	s_cbranch_execz .LBB73_13
; %bb.29:                               ;   in Loop: Header=BB73_14 Depth=1
	v_lshlrev_b64 v[18:19], 3, v[18:19]
	v_mov_b32_e32 v7, s9
	v_add_co_u32_e32 v18, vcc, s8, v18
	v_addc_co_u32_e32 v19, vcc, v7, v19, vcc
	global_load_dwordx2 v[20:21], v[18:19], off
	v_pk_mul_f32 v[16:17], v[16:17], v[8:9] op_sel_hi:[0,1]
	v_pk_fma_f32 v[16:17], v[2:3], v[0:1], v[16:17] op_sel_hi:[1,0,1]
	s_waitcnt vmcnt(0)
	v_pk_fma_f32 v[16:17], v[4:5], v[20:21], v[16:17] op_sel_hi:[1,0,1]
	v_pk_fma_f32 v[16:17], v[10:11], v[20:21], v[16:17] op_sel:[0,1,0]
	global_store_dwordx2 v[18:19], v[16:17], off
	s_branch .LBB73_13
.LBB73_30:
	s_endpgm
.LBB73_31:
	v_pk_mov_b32 v[4:5], s[8:9], s[8:9] op_sel:[0,1]
	flat_load_dword v3, v[4:5] offset:4
	s_and_b64 vcc, exec, s[0:1]
	v_mov_b32_e32 v4, s2
	s_cbranch_vccnz .LBB73_4
.LBB73_32:
	v_pk_mov_b32 v[4:5], s[2:3], s[2:3] op_sel:[0,1]
	flat_load_dword v4, v[4:5]
	s_and_b64 vcc, exec, s[0:1]
	v_mov_b32_e32 v5, s3
	s_cbranch_vccz .LBB73_5
	s_branch .LBB73_6
	.section	.rodata,"a",@progbits
	.p2align	6, 0x0
	.amdhsa_kernel _ZN9rocsparseL22bsrxmvn_general_kernelILj256ELj16E21rocsparse_complex_numIfEiifS2_S2_EEv20rocsparse_direction_NS_24const_host_device_scalarIT1_EET3_PKS7_PKT2_SC_S9_PKT4_S7_PKT5_S6_PT6_21rocsparse_index_base_b
		.amdhsa_group_segment_fixed_size 0
		.amdhsa_private_segment_fixed_size 0
		.amdhsa_kernarg_size 104
		.amdhsa_user_sgpr_count 6
		.amdhsa_user_sgpr_private_segment_buffer 1
		.amdhsa_user_sgpr_dispatch_ptr 0
		.amdhsa_user_sgpr_queue_ptr 0
		.amdhsa_user_sgpr_kernarg_segment_ptr 1
		.amdhsa_user_sgpr_dispatch_id 0
		.amdhsa_user_sgpr_flat_scratch_init 0
		.amdhsa_user_sgpr_kernarg_preload_length 0
		.amdhsa_user_sgpr_kernarg_preload_offset 0
		.amdhsa_user_sgpr_private_segment_size 0
		.amdhsa_uses_dynamic_stack 0
		.amdhsa_system_sgpr_private_segment_wavefront_offset 0
		.amdhsa_system_sgpr_workgroup_id_x 1
		.amdhsa_system_sgpr_workgroup_id_y 0
		.amdhsa_system_sgpr_workgroup_id_z 0
		.amdhsa_system_sgpr_workgroup_info 0
		.amdhsa_system_vgpr_workitem_id 0
		.amdhsa_next_free_vgpr 29
		.amdhsa_next_free_sgpr 41
		.amdhsa_accum_offset 32
		.amdhsa_reserve_vcc 1
		.amdhsa_reserve_flat_scratch 0
		.amdhsa_float_round_mode_32 0
		.amdhsa_float_round_mode_16_64 0
		.amdhsa_float_denorm_mode_32 3
		.amdhsa_float_denorm_mode_16_64 3
		.amdhsa_dx10_clamp 1
		.amdhsa_ieee_mode 1
		.amdhsa_fp16_overflow 0
		.amdhsa_tg_split 0
		.amdhsa_exception_fp_ieee_invalid_op 0
		.amdhsa_exception_fp_denorm_src 0
		.amdhsa_exception_fp_ieee_div_zero 0
		.amdhsa_exception_fp_ieee_overflow 0
		.amdhsa_exception_fp_ieee_underflow 0
		.amdhsa_exception_fp_ieee_inexact 0
		.amdhsa_exception_int_div_zero 0
	.end_amdhsa_kernel
	.section	.text._ZN9rocsparseL22bsrxmvn_general_kernelILj256ELj16E21rocsparse_complex_numIfEiifS2_S2_EEv20rocsparse_direction_NS_24const_host_device_scalarIT1_EET3_PKS7_PKT2_SC_S9_PKT4_S7_PKT5_S6_PT6_21rocsparse_index_base_b,"axG",@progbits,_ZN9rocsparseL22bsrxmvn_general_kernelILj256ELj16E21rocsparse_complex_numIfEiifS2_S2_EEv20rocsparse_direction_NS_24const_host_device_scalarIT1_EET3_PKS7_PKT2_SC_S9_PKT4_S7_PKT5_S6_PT6_21rocsparse_index_base_b,comdat
.Lfunc_end73:
	.size	_ZN9rocsparseL22bsrxmvn_general_kernelILj256ELj16E21rocsparse_complex_numIfEiifS2_S2_EEv20rocsparse_direction_NS_24const_host_device_scalarIT1_EET3_PKS7_PKT2_SC_S9_PKT4_S7_PKT5_S6_PT6_21rocsparse_index_base_b, .Lfunc_end73-_ZN9rocsparseL22bsrxmvn_general_kernelILj256ELj16E21rocsparse_complex_numIfEiifS2_S2_EEv20rocsparse_direction_NS_24const_host_device_scalarIT1_EET3_PKS7_PKT2_SC_S9_PKT4_S7_PKT5_S6_PT6_21rocsparse_index_base_b
                                        ; -- End function
	.section	.AMDGPU.csdata,"",@progbits
; Kernel info:
; codeLenInByte = 1292
; NumSgprs: 45
; NumVgprs: 29
; NumAgprs: 0
; TotalNumVgprs: 29
; ScratchSize: 0
; MemoryBound: 0
; FloatMode: 240
; IeeeMode: 1
; LDSByteSize: 0 bytes/workgroup (compile time only)
; SGPRBlocks: 5
; VGPRBlocks: 3
; NumSGPRsForWavesPerEU: 45
; NumVGPRsForWavesPerEU: 29
; AccumOffset: 32
; Occupancy: 8
; WaveLimiterHint : 1
; COMPUTE_PGM_RSRC2:SCRATCH_EN: 0
; COMPUTE_PGM_RSRC2:USER_SGPR: 6
; COMPUTE_PGM_RSRC2:TRAP_HANDLER: 0
; COMPUTE_PGM_RSRC2:TGID_X_EN: 1
; COMPUTE_PGM_RSRC2:TGID_Y_EN: 0
; COMPUTE_PGM_RSRC2:TGID_Z_EN: 0
; COMPUTE_PGM_RSRC2:TIDIG_COMP_CNT: 0
; COMPUTE_PGM_RSRC3_GFX90A:ACCUM_OFFSET: 7
; COMPUTE_PGM_RSRC3_GFX90A:TG_SPLIT: 0
	.section	.text._ZN9rocsparseL22bsrxmvn_general_kernelILj1024ELj32E21rocsparse_complex_numIfEiifS2_S2_EEv20rocsparse_direction_NS_24const_host_device_scalarIT1_EET3_PKS7_PKT2_SC_S9_PKT4_S7_PKT5_S6_PT6_21rocsparse_index_base_b,"axG",@progbits,_ZN9rocsparseL22bsrxmvn_general_kernelILj1024ELj32E21rocsparse_complex_numIfEiifS2_S2_EEv20rocsparse_direction_NS_24const_host_device_scalarIT1_EET3_PKS7_PKT2_SC_S9_PKT4_S7_PKT5_S6_PT6_21rocsparse_index_base_b,comdat
	.globl	_ZN9rocsparseL22bsrxmvn_general_kernelILj1024ELj32E21rocsparse_complex_numIfEiifS2_S2_EEv20rocsparse_direction_NS_24const_host_device_scalarIT1_EET3_PKS7_PKT2_SC_S9_PKT4_S7_PKT5_S6_PT6_21rocsparse_index_base_b ; -- Begin function _ZN9rocsparseL22bsrxmvn_general_kernelILj1024ELj32E21rocsparse_complex_numIfEiifS2_S2_EEv20rocsparse_direction_NS_24const_host_device_scalarIT1_EET3_PKS7_PKT2_SC_S9_PKT4_S7_PKT5_S6_PT6_21rocsparse_index_base_b
	.p2align	8
	.type	_ZN9rocsparseL22bsrxmvn_general_kernelILj1024ELj32E21rocsparse_complex_numIfEiifS2_S2_EEv20rocsparse_direction_NS_24const_host_device_scalarIT1_EET3_PKS7_PKT2_SC_S9_PKT4_S7_PKT5_S6_PT6_21rocsparse_index_base_b,@function
_ZN9rocsparseL22bsrxmvn_general_kernelILj1024ELj32E21rocsparse_complex_numIfEiifS2_S2_EEv20rocsparse_direction_NS_24const_host_device_scalarIT1_EET3_PKS7_PKT2_SC_S9_PKT4_S7_PKT5_S6_PT6_21rocsparse_index_base_b: ; @_ZN9rocsparseL22bsrxmvn_general_kernelILj1024ELj32E21rocsparse_complex_numIfEiifS2_S2_EEv20rocsparse_direction_NS_24const_host_device_scalarIT1_EET3_PKS7_PKT2_SC_S9_PKT4_S7_PKT5_S6_PT6_21rocsparse_index_base_b
; %bb.0:
	s_load_dwordx2 s[16:17], s[4:5], 0x60
	s_load_dwordx2 s[8:9], s[4:5], 0x8
	;; [unrolled: 1-line block ×3, first 2 shown]
	s_waitcnt lgkmcnt(0)
	s_bitcmp1_b32 s17, 0
	s_cselect_b64 s[0:1], -1, 0
	s_xor_b64 s[10:11], s[0:1], -1
	s_and_b64 vcc, exec, s[0:1]
	v_mov_b32_e32 v2, s8
	s_cbranch_vccnz .LBB74_2
; %bb.1:
	v_pk_mov_b32 v[2:3], s[8:9], s[8:9] op_sel:[0,1]
	flat_load_dword v2, v[2:3]
.LBB74_2:
	v_cndmask_b32_e64 v1, 0, 1, s[10:11]
	v_cmp_ne_u32_e64 s[0:1], 1, v1
	s_andn2_b64 vcc, exec, s[10:11]
	v_mov_b32_e32 v3, s9
	s_cbranch_vccz .LBB74_31
; %bb.3:
	s_and_b64 vcc, exec, s[0:1]
	v_mov_b32_e32 v4, s2
	s_cbranch_vccz .LBB74_32
.LBB74_4:
	s_and_b64 vcc, exec, s[0:1]
	v_mov_b32_e32 v5, s3
	s_cbranch_vccnz .LBB74_6
.LBB74_5:
	v_pk_mov_b32 v[6:7], s[2:3], s[2:3] op_sel:[0,1]
	flat_load_dword v5, v[6:7] offset:4
.LBB74_6:
	s_waitcnt vmcnt(0) lgkmcnt(0)
	v_and_b32_e32 v1, 0x7fffffff, v2
	v_cmp_eq_u32_e32 vcc, 0, v1
	v_cmp_eq_f32_e64 s[0:1], 0, v3
	s_and_b64 s[8:9], vcc, s[0:1]
	s_mov_b64 s[0:1], -1
	s_and_saveexec_b64 s[2:3], s[8:9]
; %bb.7:
	v_and_b32_e32 v1, 0x7fffffff, v5
	v_cmp_neq_f32_e32 vcc, 1.0, v4
	v_cmp_ne_u32_e64 s[0:1], 0, v1
	s_or_b64 s[0:1], vcc, s[0:1]
	s_orn2_b64 s[0:1], s[0:1], exec
; %bb.8:
	s_or_b64 exec, exec, s[2:3]
	s_and_saveexec_b64 s[2:3], s[0:1]
	s_cbranch_execz .LBB74_30
; %bb.9:
	s_load_dwordx2 s[0:1], s[4:5], 0x18
	s_waitcnt lgkmcnt(0)
	s_cmp_eq_u64 s[0:1], 0
	s_cbranch_scc1 .LBB74_11
; %bb.10:
	s_ashr_i32 s7, s6, 31
	s_lshl_b64 s[2:3], s[6:7], 2
	s_add_u32 s0, s0, s2
	s_addc_u32 s1, s1, s3
	s_load_dword s0, s[0:1], 0x0
	s_waitcnt lgkmcnt(0)
	s_sub_i32 s6, s0, s16
.LBB74_11:
	s_load_dword s17, s[4:5], 0x40
	v_lshrrev_b32_e32 v6, 5, v0
	s_waitcnt lgkmcnt(0)
	v_cmp_gt_i32_e32 vcc, s17, v6
	s_and_b64 exec, exec, vcc
	s_cbranch_execz .LBB74_30
; %bb.12:
	s_load_dwordx8 s[8:15], s[4:5], 0x20
	s_ashr_i32 s7, s6, 31
	s_lshl_b64 s[0:1], s[6:7], 2
	v_and_b32_e32 v1, 0x7fffffff, v4
	s_mul_hi_u32 s34, s17, s17
	s_waitcnt lgkmcnt(0)
	s_add_u32 s2, s8, s0
	s_addc_u32 s3, s9, s1
	s_load_dword s7, s[2:3], 0x0
	s_load_dwordx2 s[8:9], s[4:5], 0x58
	s_load_dwordx2 s[18:19], s[4:5], 0x48
	s_mul_i32 s36, s17, s17
	v_cmp_eq_u32_e32 vcc, 0, v1
	s_waitcnt lgkmcnt(0)
	s_sub_i32 s33, s7, s16
	s_add_u32 s2, s2, 4
	s_addc_u32 s3, s3, 0
	s_add_u32 s0, s10, s0
	s_addc_u32 s1, s11, s1
	s_cmp_eq_u64 s[10:11], 0
	s_cselect_b32 s1, s3, s1
	s_cselect_b32 s0, s2, s0
	s_load_dword s2, s[0:1], 0x0
	s_load_dword s3, s[4:5], 0x0
	v_cmp_eq_f32_e64 s[4:5], 0, v5
	v_and_b32_e32 v0, 31, v0
	s_mul_i32 s37, s6, s17
	s_waitcnt lgkmcnt(0)
	s_sub_i32 s35, s2, s16
	s_cmp_lt_i32 s7, s2
	s_cselect_b64 s[26:27], -1, 0
	s_cmp_lg_u32 s3, 0
	s_cselect_b64 s[22:23], -1, 0
	s_and_b64 s[24:25], vcc, s[4:5]
	s_ashr_i32 s4, s33, 31
	s_mul_i32 s5, s33, s34
	s_mul_hi_u32 s6, s33, s36
	v_mov_b32_e32 v1, 0
	v_cmp_gt_u32_e64 s[0:1], s17, v0
	v_cmp_eq_u32_e64 s[2:3], 31, v0
	s_add_i32 s5, s6, s5
	s_mul_i32 s4, s4, s36
	v_pk_mov_b32 v[12:13], v[0:1], v[0:1] op_sel:[0,1]
	v_mul_lo_u32 v27, s17, v0
	v_cndmask_b32_e64 v0, 0, 1, s[26:27]
	s_mov_b64 s[20:21], 0
	s_mov_b32 s10, 0
	v_xor_b32_e32 v8, 0x80000000, v3
	v_xor_b32_e32 v10, 0x80000000, v5
	v_mov_b32_e32 v9, v2
	v_mov_b32_e32 v11, v4
	s_add_i32 s38, s5, s4
	s_mul_i32 s39, s33, s36
	v_mul_lo_u32 v26, s17, v6
	s_lshl_b32 s40, s17, 5
	v_cmp_ne_u32_e64 s[4:5], 1, v0
	v_bfrev_b32_e32 v14, 1
	s_branch .LBB74_14
.LBB74_13:                              ;   in Loop: Header=BB74_14 Depth=1
	s_or_b64 exec, exec, s[6:7]
	v_add_u32_e32 v6, 32, v6
	v_cmp_le_i32_e32 vcc, s17, v6
	s_or_b64 s[20:21], vcc, s[20:21]
	v_add_u32_e32 v26, s40, v26
	s_andn2_b64 exec, exec, s[20:21]
	s_cbranch_execz .LBB74_30
.LBB74_14:                              ; =>This Loop Header: Depth=1
                                        ;     Child Loop BB74_18 Depth 2
                                        ;       Child Loop BB74_21 Depth 3
	s_mov_b32 s11, s10
	s_and_b64 vcc, exec, s[4:5]
	v_pk_mov_b32 v[16:17], s[10:11], s[10:11] op_sel:[0,1]
	s_cbranch_vccnz .LBB74_25
; %bb.15:                               ;   in Loop: Header=BB74_14 Depth=1
	v_ashrrev_i32_e32 v0, 31, v26
	v_mov_b32_e32 v7, s38
	v_add_co_u32_e32 v18, vcc, s39, v26
	v_addc_co_u32_e32 v19, vcc, v7, v0, vcc
	v_mov_b32_e32 v7, v1
	v_pk_mov_b32 v[16:17], s[10:11], s[10:11] op_sel:[0,1]
	s_mov_b32 s6, s33
	s_branch .LBB74_18
.LBB74_16:                              ;   in Loop: Header=BB74_18 Depth=2
	s_or_b64 exec, exec, s[28:29]
.LBB74_17:                              ;   in Loop: Header=BB74_18 Depth=2
	s_or_b64 exec, exec, s[26:27]
	s_add_i32 s6, s6, 1
	v_mov_b32_e32 v0, s34
	v_add_co_u32_e32 v18, vcc, s36, v18
	s_cmp_ge_i32 s6, s35
	v_addc_co_u32_e32 v19, vcc, v19, v0, vcc
	s_cbranch_scc1 .LBB74_25
.LBB74_18:                              ;   Parent Loop BB74_14 Depth=1
                                        ; =>  This Loop Header: Depth=2
                                        ;       Child Loop BB74_21 Depth 3
	s_and_saveexec_b64 s[26:27], s[0:1]
	s_cbranch_execz .LBB74_17
; %bb.19:                               ;   in Loop: Header=BB74_18 Depth=2
	s_ashr_i32 s7, s6, 31
	s_lshl_b64 s[28:29], s[6:7], 2
	s_add_u32 s28, s12, s28
	s_addc_u32 s29, s13, s29
	s_load_dword s11, s[28:29], 0x0
	s_mul_i32 s28, s34, s6
	v_mov_b32_e32 v0, s6
	s_mul_i32 s7, s36, s7
	s_add_i32 s7, s7, s28
	s_waitcnt lgkmcnt(0)
	s_sub_i32 s11, s11, s16
	v_mad_u64_u32 v[20:21], s[28:29], s36, v0, v[6:7]
	v_add_u32_e32 v21, s7, v21
	s_mul_i32 s7, s11, s17
	s_mov_b64 s[28:29], 0
	v_mov_b32_e32 v28, v27
	v_pk_mov_b32 v[22:23], v[12:13], v[12:13] op_sel:[0,1]
	s_branch .LBB74_21
.LBB74_20:                              ;   in Loop: Header=BB74_21 Depth=3
	v_lshlrev_b64 v[24:25], 2, v[24:25]
	v_mov_b32_e32 v0, s15
	v_add_co_u32_e32 v24, vcc, s14, v24
	v_addc_co_u32_e32 v25, vcc, v0, v25, vcc
	global_load_dword v0, v[24:25], off
	v_add_u32_e32 v24, s7, v22
	v_ashrrev_i32_e32 v25, 31, v24
	v_lshlrev_b64 v[24:25], 3, v[24:25]
	v_mov_b32_e32 v15, s19
	v_add_co_u32_e32 v24, vcc, s18, v24
	v_addc_co_u32_e32 v25, vcc, v15, v25, vcc
	global_load_dwordx2 v[24:25], v[24:25], off
	v_add_co_u32_e32 v22, vcc, 32, v22
	v_addc_co_u32_e32 v23, vcc, 0, v23, vcc
	v_cmp_le_i32_e32 vcc, s17, v22
	s_or_b64 s[28:29], vcc, s[28:29]
	v_add_u32_e32 v28, s40, v28
	s_waitcnt vmcnt(1)
	v_mov_b32_e32 v15, v0
	s_waitcnt vmcnt(0)
	v_pk_fma_f32 v[16:17], v[24:25], v[0:1], v[16:17] op_sel_hi:[0,1,1]
	v_pk_fma_f32 v[16:17], v[24:25], v[14:15], v[16:17] op_sel:[1,0,0]
	s_andn2_b64 exec, exec, s[28:29]
	s_cbranch_execz .LBB74_16
.LBB74_21:                              ;   Parent Loop BB74_14 Depth=1
                                        ;     Parent Loop BB74_18 Depth=2
                                        ; =>    This Inner Loop Header: Depth=3
	s_and_b64 vcc, exec, s[22:23]
	s_cbranch_vccz .LBB74_23
; %bb.22:                               ;   in Loop: Header=BB74_21 Depth=3
	v_ashrrev_i32_e32 v0, 31, v28
	v_add_co_u32_e32 v24, vcc, v20, v28
	v_addc_co_u32_e32 v25, vcc, v21, v0, vcc
	s_cbranch_execnz .LBB74_20
	s_branch .LBB74_24
.LBB74_23:                              ;   in Loop: Header=BB74_21 Depth=3
                                        ; implicit-def: $vgpr24_vgpr25
.LBB74_24:                              ;   in Loop: Header=BB74_21 Depth=3
	v_add_co_u32_e32 v24, vcc, v18, v22
	v_addc_co_u32_e32 v25, vcc, v19, v23, vcc
	s_branch .LBB74_20
.LBB74_25:                              ;   in Loop: Header=BB74_14 Depth=1
	s_nop 0
	v_mov_b32_dpp v0, v16 row_shr:1 row_mask:0xf bank_mask:0xf
	v_mov_b32_dpp v15, v17 row_shr:1 row_mask:0xf bank_mask:0xf
	v_add_f32_e32 v0, v16, v0
	v_add_f32_e32 v15, v17, v15
	s_nop 0
	v_mov_b32_dpp v7, v0 row_shr:2 row_mask:0xf bank_mask:0xf
	v_mov_b32_dpp v16, v15 row_shr:2 row_mask:0xf bank_mask:0xf
	v_add_f32_e32 v0, v0, v7
	v_add_f32_e32 v15, v15, v16
	;; [unrolled: 5-line block ×4, first 2 shown]
	s_nop 0
	v_mov_b32_dpp v7, v0 row_bcast:15 row_mask:0xa bank_mask:0xf
	v_mov_b32_dpp v16, v15 row_bcast:15 row_mask:0xa bank_mask:0xf
	s_and_saveexec_b64 s[6:7], s[2:3]
	s_cbranch_execz .LBB74_13
; %bb.26:                               ;   in Loop: Header=BB74_14 Depth=1
	v_add_u32_e32 v18, s37, v6
	v_add_f32_e32 v0, v0, v7
	v_add_f32_e32 v16, v15, v16
	v_ashrrev_i32_e32 v19, 31, v18
	s_and_saveexec_b64 s[26:27], s[24:25]
	s_xor_b64 s[26:27], exec, s[26:27]
	s_cbranch_execz .LBB74_28
; %bb.27:                               ;   in Loop: Header=BB74_14 Depth=1
	v_lshlrev_b64 v[18:19], 3, v[18:19]
	v_mov_b32_e32 v7, s9
	v_add_co_u32_e32 v18, vcc, s8, v18
	v_pk_mul_f32 v[16:17], v[16:17], v[8:9] op_sel_hi:[0,1]
	v_addc_co_u32_e32 v19, vcc, v7, v19, vcc
	v_pk_fma_f32 v[16:17], v[2:3], v[0:1], v[16:17] op_sel_hi:[1,0,1]
	global_store_dwordx2 v[18:19], v[16:17], off
                                        ; implicit-def: $vgpr18
                                        ; implicit-def: $vgpr16
                                        ; implicit-def: $vgpr0
.LBB74_28:                              ;   in Loop: Header=BB74_14 Depth=1
	s_andn2_saveexec_b64 s[26:27], s[26:27]
	s_cbranch_execz .LBB74_13
; %bb.29:                               ;   in Loop: Header=BB74_14 Depth=1
	v_lshlrev_b64 v[18:19], 3, v[18:19]
	v_mov_b32_e32 v7, s9
	v_add_co_u32_e32 v18, vcc, s8, v18
	v_addc_co_u32_e32 v19, vcc, v7, v19, vcc
	global_load_dwordx2 v[20:21], v[18:19], off
	v_pk_mul_f32 v[16:17], v[16:17], v[8:9] op_sel_hi:[0,1]
	v_pk_fma_f32 v[16:17], v[2:3], v[0:1], v[16:17] op_sel_hi:[1,0,1]
	s_waitcnt vmcnt(0)
	v_pk_fma_f32 v[16:17], v[4:5], v[20:21], v[16:17] op_sel_hi:[1,0,1]
	v_pk_fma_f32 v[16:17], v[10:11], v[20:21], v[16:17] op_sel:[0,1,0]
	global_store_dwordx2 v[18:19], v[16:17], off
	s_branch .LBB74_13
.LBB74_30:
	s_endpgm
.LBB74_31:
	v_pk_mov_b32 v[4:5], s[8:9], s[8:9] op_sel:[0,1]
	flat_load_dword v3, v[4:5] offset:4
	s_and_b64 vcc, exec, s[0:1]
	v_mov_b32_e32 v4, s2
	s_cbranch_vccnz .LBB74_4
.LBB74_32:
	v_pk_mov_b32 v[4:5], s[2:3], s[2:3] op_sel:[0,1]
	flat_load_dword v4, v[4:5]
	s_and_b64 vcc, exec, s[0:1]
	v_mov_b32_e32 v5, s3
	s_cbranch_vccz .LBB74_5
	s_branch .LBB74_6
	.section	.rodata,"a",@progbits
	.p2align	6, 0x0
	.amdhsa_kernel _ZN9rocsparseL22bsrxmvn_general_kernelILj1024ELj32E21rocsparse_complex_numIfEiifS2_S2_EEv20rocsparse_direction_NS_24const_host_device_scalarIT1_EET3_PKS7_PKT2_SC_S9_PKT4_S7_PKT5_S6_PT6_21rocsparse_index_base_b
		.amdhsa_group_segment_fixed_size 0
		.amdhsa_private_segment_fixed_size 0
		.amdhsa_kernarg_size 104
		.amdhsa_user_sgpr_count 6
		.amdhsa_user_sgpr_private_segment_buffer 1
		.amdhsa_user_sgpr_dispatch_ptr 0
		.amdhsa_user_sgpr_queue_ptr 0
		.amdhsa_user_sgpr_kernarg_segment_ptr 1
		.amdhsa_user_sgpr_dispatch_id 0
		.amdhsa_user_sgpr_flat_scratch_init 0
		.amdhsa_user_sgpr_kernarg_preload_length 0
		.amdhsa_user_sgpr_kernarg_preload_offset 0
		.amdhsa_user_sgpr_private_segment_size 0
		.amdhsa_uses_dynamic_stack 0
		.amdhsa_system_sgpr_private_segment_wavefront_offset 0
		.amdhsa_system_sgpr_workgroup_id_x 1
		.amdhsa_system_sgpr_workgroup_id_y 0
		.amdhsa_system_sgpr_workgroup_id_z 0
		.amdhsa_system_sgpr_workgroup_info 0
		.amdhsa_system_vgpr_workitem_id 0
		.amdhsa_next_free_vgpr 29
		.amdhsa_next_free_sgpr 41
		.amdhsa_accum_offset 32
		.amdhsa_reserve_vcc 1
		.amdhsa_reserve_flat_scratch 0
		.amdhsa_float_round_mode_32 0
		.amdhsa_float_round_mode_16_64 0
		.amdhsa_float_denorm_mode_32 3
		.amdhsa_float_denorm_mode_16_64 3
		.amdhsa_dx10_clamp 1
		.amdhsa_ieee_mode 1
		.amdhsa_fp16_overflow 0
		.amdhsa_tg_split 0
		.amdhsa_exception_fp_ieee_invalid_op 0
		.amdhsa_exception_fp_denorm_src 0
		.amdhsa_exception_fp_ieee_div_zero 0
		.amdhsa_exception_fp_ieee_overflow 0
		.amdhsa_exception_fp_ieee_underflow 0
		.amdhsa_exception_fp_ieee_inexact 0
		.amdhsa_exception_int_div_zero 0
	.end_amdhsa_kernel
	.section	.text._ZN9rocsparseL22bsrxmvn_general_kernelILj1024ELj32E21rocsparse_complex_numIfEiifS2_S2_EEv20rocsparse_direction_NS_24const_host_device_scalarIT1_EET3_PKS7_PKT2_SC_S9_PKT4_S7_PKT5_S6_PT6_21rocsparse_index_base_b,"axG",@progbits,_ZN9rocsparseL22bsrxmvn_general_kernelILj1024ELj32E21rocsparse_complex_numIfEiifS2_S2_EEv20rocsparse_direction_NS_24const_host_device_scalarIT1_EET3_PKS7_PKT2_SC_S9_PKT4_S7_PKT5_S6_PT6_21rocsparse_index_base_b,comdat
.Lfunc_end74:
	.size	_ZN9rocsparseL22bsrxmvn_general_kernelILj1024ELj32E21rocsparse_complex_numIfEiifS2_S2_EEv20rocsparse_direction_NS_24const_host_device_scalarIT1_EET3_PKS7_PKT2_SC_S9_PKT4_S7_PKT5_S6_PT6_21rocsparse_index_base_b, .Lfunc_end74-_ZN9rocsparseL22bsrxmvn_general_kernelILj1024ELj32E21rocsparse_complex_numIfEiifS2_S2_EEv20rocsparse_direction_NS_24const_host_device_scalarIT1_EET3_PKS7_PKT2_SC_S9_PKT4_S7_PKT5_S6_PT6_21rocsparse_index_base_b
                                        ; -- End function
	.section	.AMDGPU.csdata,"",@progbits
; Kernel info:
; codeLenInByte = 1320
; NumSgprs: 45
; NumVgprs: 29
; NumAgprs: 0
; TotalNumVgprs: 29
; ScratchSize: 0
; MemoryBound: 0
; FloatMode: 240
; IeeeMode: 1
; LDSByteSize: 0 bytes/workgroup (compile time only)
; SGPRBlocks: 5
; VGPRBlocks: 3
; NumSGPRsForWavesPerEU: 45
; NumVGPRsForWavesPerEU: 29
; AccumOffset: 32
; Occupancy: 8
; WaveLimiterHint : 1
; COMPUTE_PGM_RSRC2:SCRATCH_EN: 0
; COMPUTE_PGM_RSRC2:USER_SGPR: 6
; COMPUTE_PGM_RSRC2:TRAP_HANDLER: 0
; COMPUTE_PGM_RSRC2:TGID_X_EN: 1
; COMPUTE_PGM_RSRC2:TGID_Y_EN: 0
; COMPUTE_PGM_RSRC2:TGID_Z_EN: 0
; COMPUTE_PGM_RSRC2:TIDIG_COMP_CNT: 0
; COMPUTE_PGM_RSRC3_GFX90A:ACCUM_OFFSET: 7
; COMPUTE_PGM_RSRC3_GFX90A:TG_SPLIT: 0
	.section	.text._ZN9rocsparseL22bsrxmvn_general_kernelILj64ELj8E21rocsparse_complex_numIfElifS2_S2_EEv20rocsparse_direction_NS_24const_host_device_scalarIT1_EET3_PKS7_PKT2_SC_S9_PKT4_S7_PKT5_S6_PT6_21rocsparse_index_base_b,"axG",@progbits,_ZN9rocsparseL22bsrxmvn_general_kernelILj64ELj8E21rocsparse_complex_numIfElifS2_S2_EEv20rocsparse_direction_NS_24const_host_device_scalarIT1_EET3_PKS7_PKT2_SC_S9_PKT4_S7_PKT5_S6_PT6_21rocsparse_index_base_b,comdat
	.globl	_ZN9rocsparseL22bsrxmvn_general_kernelILj64ELj8E21rocsparse_complex_numIfElifS2_S2_EEv20rocsparse_direction_NS_24const_host_device_scalarIT1_EET3_PKS7_PKT2_SC_S9_PKT4_S7_PKT5_S6_PT6_21rocsparse_index_base_b ; -- Begin function _ZN9rocsparseL22bsrxmvn_general_kernelILj64ELj8E21rocsparse_complex_numIfElifS2_S2_EEv20rocsparse_direction_NS_24const_host_device_scalarIT1_EET3_PKS7_PKT2_SC_S9_PKT4_S7_PKT5_S6_PT6_21rocsparse_index_base_b
	.p2align	8
	.type	_ZN9rocsparseL22bsrxmvn_general_kernelILj64ELj8E21rocsparse_complex_numIfElifS2_S2_EEv20rocsparse_direction_NS_24const_host_device_scalarIT1_EET3_PKS7_PKT2_SC_S9_PKT4_S7_PKT5_S6_PT6_21rocsparse_index_base_b,@function
_ZN9rocsparseL22bsrxmvn_general_kernelILj64ELj8E21rocsparse_complex_numIfElifS2_S2_EEv20rocsparse_direction_NS_24const_host_device_scalarIT1_EET3_PKS7_PKT2_SC_S9_PKT4_S7_PKT5_S6_PT6_21rocsparse_index_base_b: ; @_ZN9rocsparseL22bsrxmvn_general_kernelILj64ELj8E21rocsparse_complex_numIfElifS2_S2_EEv20rocsparse_direction_NS_24const_host_device_scalarIT1_EET3_PKS7_PKT2_SC_S9_PKT4_S7_PKT5_S6_PT6_21rocsparse_index_base_b
; %bb.0:
	s_load_dwordx2 s[16:17], s[4:5], 0x60
	s_load_dwordx2 s[8:9], s[4:5], 0x8
	;; [unrolled: 1-line block ×3, first 2 shown]
	s_waitcnt lgkmcnt(0)
	s_bitcmp1_b32 s17, 0
	s_cselect_b64 s[0:1], -1, 0
	s_xor_b64 s[10:11], s[0:1], -1
	s_and_b64 vcc, exec, s[0:1]
	v_mov_b32_e32 v2, s8
	s_cbranch_vccnz .LBB75_2
; %bb.1:
	v_pk_mov_b32 v[2:3], s[8:9], s[8:9] op_sel:[0,1]
	flat_load_dword v2, v[2:3]
.LBB75_2:
	v_cndmask_b32_e64 v1, 0, 1, s[10:11]
	v_cmp_ne_u32_e64 s[0:1], 1, v1
	s_andn2_b64 vcc, exec, s[10:11]
	v_mov_b32_e32 v3, s9
	s_cbranch_vccz .LBB75_31
; %bb.3:
	s_and_b64 vcc, exec, s[0:1]
	v_mov_b32_e32 v4, s2
	s_cbranch_vccz .LBB75_32
.LBB75_4:
	s_and_b64 vcc, exec, s[0:1]
	v_mov_b32_e32 v5, s3
	s_cbranch_vccnz .LBB75_6
.LBB75_5:
	v_pk_mov_b32 v[6:7], s[2:3], s[2:3] op_sel:[0,1]
	flat_load_dword v5, v[6:7] offset:4
.LBB75_6:
	s_waitcnt vmcnt(0) lgkmcnt(0)
	v_and_b32_e32 v1, 0x7fffffff, v2
	v_cmp_eq_u32_e32 vcc, 0, v1
	v_cmp_eq_f32_e64 s[0:1], 0, v3
	s_and_b64 s[8:9], vcc, s[0:1]
	s_mov_b64 s[0:1], -1
	s_and_saveexec_b64 s[2:3], s[8:9]
; %bb.7:
	v_and_b32_e32 v1, 0x7fffffff, v5
	v_cmp_neq_f32_e32 vcc, 1.0, v4
	v_cmp_ne_u32_e64 s[0:1], 0, v1
	s_or_b64 s[0:1], vcc, s[0:1]
	s_orn2_b64 s[0:1], s[0:1], exec
; %bb.8:
	s_or_b64 exec, exec, s[2:3]
	s_and_saveexec_b64 s[2:3], s[0:1]
	s_cbranch_execz .LBB75_30
; %bb.9:
	s_load_dwordx2 s[0:1], s[4:5], 0x18
	s_waitcnt lgkmcnt(0)
	s_cmp_eq_u64 s[0:1], 0
	s_cbranch_scc1 .LBB75_11
; %bb.10:
	s_ashr_i32 s7, s6, 31
	s_lshl_b64 s[2:3], s[6:7], 2
	s_add_u32 s0, s0, s2
	s_addc_u32 s1, s1, s3
	s_load_dword s0, s[0:1], 0x0
	s_waitcnt lgkmcnt(0)
	s_sub_i32 s6, s0, s16
.LBB75_11:
	s_load_dword s17, s[4:5], 0x40
	v_lshrrev_b32_e32 v6, 3, v0
	s_waitcnt lgkmcnt(0)
	v_cmp_gt_i32_e32 vcc, s17, v6
	s_and_b64 exec, exec, vcc
	s_cbranch_execz .LBB75_30
; %bb.12:
	s_load_dwordx8 s[8:15], s[4:5], 0x20
	s_ashr_i32 s7, s6, 31
	s_lshl_b64 s[0:1], s[6:7], 3
	v_and_b32_e32 v1, 0x7fffffff, v4
	s_mul_hi_u32 s33, s17, s17
	s_waitcnt lgkmcnt(0)
	s_add_u32 s2, s8, s0
	s_addc_u32 s3, s9, s1
	s_load_dwordx2 s[30:31], s[2:3], 0x0
	s_load_dwordx2 s[8:9], s[4:5], 0x58
	;; [unrolled: 1-line block ×3, first 2 shown]
	s_mul_i32 s38, s17, s17
	s_load_dword s4, s[4:5], 0x0
	s_waitcnt lgkmcnt(0)
	s_sub_u32 s24, s30, s16
	s_subb_u32 s25, s31, 0
	s_add_u32 s2, s2, 8
	s_addc_u32 s3, s3, 0
	s_add_u32 s0, s10, s0
	s_addc_u32 s1, s11, s1
	s_cmp_eq_u64 s[10:11], 0
	s_cselect_b32 s1, s3, s1
	s_cselect_b32 s0, s2, s0
	s_load_dwordx2 s[2:3], s[0:1], 0x0
	v_cmp_eq_u32_e32 vcc, 0, v1
	v_and_b32_e32 v0, 7, v0
	v_mov_b32_e32 v1, 0
	v_cmp_gt_u32_e64 s[0:1], s17, v0
	s_waitcnt lgkmcnt(0)
	s_sub_u32 s10, s2, s16
	s_subb_u32 s11, s3, 0
	v_pk_mov_b32 v[14:15], s[2:3], s[2:3] op_sel:[0,1]
	s_cmp_lg_u32 s4, 0
	v_cmp_eq_f32_e64 s[4:5], 0, v5
	s_cselect_b64 s[26:27], -1, 0
	s_and_b64 s[28:29], vcc, s[4:5]
	s_mul_i32 s4, s24, s33
	s_mul_hi_u32 s5, s24, s38
	v_cmp_lt_i64_e32 vcc, s[30:31], v[14:15]
	v_cmp_eq_u32_e64 s[2:3], 7, v0
	s_add_i32 s4, s5, s4
	s_mul_i32 s5, s25, s38
	v_pk_mov_b32 v[12:13], v[0:1], v[0:1] op_sel:[0,1]
	v_mul_lo_u32 v27, s17, v0
	v_cndmask_b32_e64 v0, 0, 1, vcc
	s_mov_b32 s20, 0
	s_mov_b64 s[22:23], 0
	v_xor_b32_e32 v8, 0x80000000, v3
	s_mul_i32 s39, s6, s17
	v_xor_b32_e32 v10, 0x80000000, v5
	v_mov_b32_e32 v9, v2
	v_mov_b32_e32 v11, v4
	s_add_i32 s40, s4, s5
	s_mul_i32 s41, s24, s38
	v_mul_lo_u32 v26, s17, v6
	s_lshl_b32 s42, s17, 3
	v_cmp_ne_u32_e64 s[4:5], 1, v0
	v_bfrev_b32_e32 v14, 1
	s_branch .LBB75_14
.LBB75_13:                              ;   in Loop: Header=BB75_14 Depth=1
	s_or_b64 exec, exec, s[6:7]
	v_add_u32_e32 v6, 8, v6
	v_cmp_le_i32_e32 vcc, s17, v6
	s_or_b64 s[22:23], vcc, s[22:23]
	v_add_u32_e32 v26, s42, v26
	s_andn2_b64 exec, exec, s[22:23]
	s_cbranch_execz .LBB75_30
.LBB75_14:                              ; =>This Loop Header: Depth=1
                                        ;     Child Loop BB75_18 Depth 2
                                        ;       Child Loop BB75_21 Depth 3
	s_mov_b32 s21, s20
	s_and_b64 vcc, exec, s[4:5]
	v_pk_mov_b32 v[16:17], s[20:21], s[20:21] op_sel:[0,1]
	s_cbranch_vccnz .LBB75_25
; %bb.15:                               ;   in Loop: Header=BB75_14 Depth=1
	v_ashrrev_i32_e32 v0, 31, v26
	v_mov_b32_e32 v7, s40
	v_add_co_u32_e32 v18, vcc, s41, v26
	v_addc_co_u32_e32 v19, vcc, v7, v0, vcc
	v_ashrrev_i32_e32 v7, 31, v6
	v_pk_mov_b32 v[16:17], s[20:21], s[20:21] op_sel:[0,1]
	s_mov_b64 s[6:7], s[24:25]
	s_branch .LBB75_18
.LBB75_16:                              ;   in Loop: Header=BB75_18 Depth=2
	s_or_b64 exec, exec, s[34:35]
.LBB75_17:                              ;   in Loop: Header=BB75_18 Depth=2
	s_or_b64 exec, exec, s[30:31]
	s_add_u32 s6, s6, 1
	v_mov_b32_e32 v0, s33
	v_add_co_u32_e32 v18, vcc, s38, v18
	s_addc_u32 s7, s7, 0
	v_addc_co_u32_e32 v19, vcc, v19, v0, vcc
	v_pk_mov_b32 v[20:21], s[10:11], s[10:11] op_sel:[0,1]
	v_cmp_ge_i64_e32 vcc, s[6:7], v[20:21]
	s_cbranch_vccnz .LBB75_25
.LBB75_18:                              ;   Parent Loop BB75_14 Depth=1
                                        ; =>  This Loop Header: Depth=2
                                        ;       Child Loop BB75_21 Depth 3
	s_and_saveexec_b64 s[30:31], s[0:1]
	s_cbranch_execz .LBB75_17
; %bb.19:                               ;   in Loop: Header=BB75_18 Depth=2
	s_lshl_b64 s[34:35], s[6:7], 2
	s_add_u32 s34, s12, s34
	s_addc_u32 s35, s13, s35
	s_load_dword s21, s[34:35], 0x0
	s_mul_i32 s34, s33, s6
	s_mul_i32 s35, s38, s7
	v_mov_b32_e32 v0, s6
	s_add_i32 s36, s35, s34
	s_waitcnt lgkmcnt(0)
	s_sub_i32 s21, s21, s16
	v_mad_u64_u32 v[20:21], s[34:35], s38, v0, v[6:7]
	v_add_u32_e32 v21, s36, v21
	s_mul_i32 s21, s21, s17
	s_mov_b64 s[34:35], 0
	v_mov_b32_e32 v28, v27
	v_pk_mov_b32 v[22:23], v[12:13], v[12:13] op_sel:[0,1]
	s_branch .LBB75_21
.LBB75_20:                              ;   in Loop: Header=BB75_21 Depth=3
	v_lshlrev_b64 v[24:25], 2, v[24:25]
	v_mov_b32_e32 v0, s15
	v_add_co_u32_e32 v24, vcc, s14, v24
	v_addc_co_u32_e32 v25, vcc, v0, v25, vcc
	global_load_dword v0, v[24:25], off
	v_add_u32_e32 v24, s21, v22
	v_ashrrev_i32_e32 v25, 31, v24
	v_lshlrev_b64 v[24:25], 3, v[24:25]
	v_mov_b32_e32 v15, s19
	v_add_co_u32_e32 v24, vcc, s18, v24
	v_addc_co_u32_e32 v25, vcc, v15, v25, vcc
	global_load_dwordx2 v[24:25], v[24:25], off
	v_add_co_u32_e32 v22, vcc, 8, v22
	v_addc_co_u32_e32 v23, vcc, 0, v23, vcc
	v_cmp_le_i32_e32 vcc, s17, v22
	s_or_b64 s[34:35], vcc, s[34:35]
	v_add_u32_e32 v28, s42, v28
	s_waitcnt vmcnt(1)
	v_mov_b32_e32 v15, v0
	s_waitcnt vmcnt(0)
	v_pk_fma_f32 v[16:17], v[24:25], v[0:1], v[16:17] op_sel_hi:[0,1,1]
	v_pk_fma_f32 v[16:17], v[24:25], v[14:15], v[16:17] op_sel:[1,0,0]
	s_andn2_b64 exec, exec, s[34:35]
	s_cbranch_execz .LBB75_16
.LBB75_21:                              ;   Parent Loop BB75_14 Depth=1
                                        ;     Parent Loop BB75_18 Depth=2
                                        ; =>    This Inner Loop Header: Depth=3
	s_and_b64 vcc, exec, s[26:27]
	s_cbranch_vccz .LBB75_23
; %bb.22:                               ;   in Loop: Header=BB75_21 Depth=3
	v_ashrrev_i32_e32 v0, 31, v28
	v_add_co_u32_e32 v24, vcc, v20, v28
	v_addc_co_u32_e32 v25, vcc, v21, v0, vcc
	s_cbranch_execnz .LBB75_20
	s_branch .LBB75_24
.LBB75_23:                              ;   in Loop: Header=BB75_21 Depth=3
                                        ; implicit-def: $vgpr24_vgpr25
.LBB75_24:                              ;   in Loop: Header=BB75_21 Depth=3
	v_add_co_u32_e32 v24, vcc, v18, v22
	v_addc_co_u32_e32 v25, vcc, v19, v23, vcc
	s_branch .LBB75_20
.LBB75_25:                              ;   in Loop: Header=BB75_14 Depth=1
	s_nop 0
	v_mov_b32_dpp v0, v16 row_shr:1 row_mask:0xf bank_mask:0xf
	v_mov_b32_dpp v15, v17 row_shr:1 row_mask:0xf bank_mask:0xf
	v_add_f32_e32 v0, v16, v0
	v_add_f32_e32 v15, v17, v15
	s_nop 0
	v_mov_b32_dpp v7, v0 row_shr:2 row_mask:0xf bank_mask:0xf
	v_mov_b32_dpp v16, v15 row_shr:2 row_mask:0xf bank_mask:0xf
	v_add_f32_e32 v0, v0, v7
	v_add_f32_e32 v15, v15, v16
	s_nop 0
	v_mov_b32_dpp v7, v0 row_shr:4 row_mask:0xf bank_mask:0xe
	v_mov_b32_dpp v16, v15 row_shr:4 row_mask:0xf bank_mask:0xe
	s_and_saveexec_b64 s[6:7], s[2:3]
	s_cbranch_execz .LBB75_13
; %bb.26:                               ;   in Loop: Header=BB75_14 Depth=1
	v_add_u32_e32 v18, s39, v6
	v_add_f32_e32 v0, v0, v7
	v_add_f32_e32 v16, v15, v16
	v_ashrrev_i32_e32 v19, 31, v18
	s_and_saveexec_b64 s[30:31], s[28:29]
	s_xor_b64 s[30:31], exec, s[30:31]
	s_cbranch_execz .LBB75_28
; %bb.27:                               ;   in Loop: Header=BB75_14 Depth=1
	v_lshlrev_b64 v[18:19], 3, v[18:19]
	v_mov_b32_e32 v7, s9
	v_add_co_u32_e32 v18, vcc, s8, v18
	v_pk_mul_f32 v[16:17], v[16:17], v[8:9] op_sel_hi:[0,1]
	v_addc_co_u32_e32 v19, vcc, v7, v19, vcc
	v_pk_fma_f32 v[16:17], v[2:3], v[0:1], v[16:17] op_sel_hi:[1,0,1]
	global_store_dwordx2 v[18:19], v[16:17], off
                                        ; implicit-def: $vgpr18
                                        ; implicit-def: $vgpr16
                                        ; implicit-def: $vgpr0
.LBB75_28:                              ;   in Loop: Header=BB75_14 Depth=1
	s_andn2_saveexec_b64 s[30:31], s[30:31]
	s_cbranch_execz .LBB75_13
; %bb.29:                               ;   in Loop: Header=BB75_14 Depth=1
	v_lshlrev_b64 v[18:19], 3, v[18:19]
	v_mov_b32_e32 v7, s9
	v_add_co_u32_e32 v18, vcc, s8, v18
	v_addc_co_u32_e32 v19, vcc, v7, v19, vcc
	global_load_dwordx2 v[20:21], v[18:19], off
	v_pk_mul_f32 v[16:17], v[16:17], v[8:9] op_sel_hi:[0,1]
	v_pk_fma_f32 v[16:17], v[2:3], v[0:1], v[16:17] op_sel_hi:[1,0,1]
	s_waitcnt vmcnt(0)
	v_pk_fma_f32 v[16:17], v[4:5], v[20:21], v[16:17] op_sel_hi:[1,0,1]
	v_pk_fma_f32 v[16:17], v[10:11], v[20:21], v[16:17] op_sel:[0,1,0]
	global_store_dwordx2 v[18:19], v[16:17], off
	s_branch .LBB75_13
.LBB75_30:
	s_endpgm
.LBB75_31:
	v_pk_mov_b32 v[4:5], s[8:9], s[8:9] op_sel:[0,1]
	flat_load_dword v3, v[4:5] offset:4
	s_and_b64 vcc, exec, s[0:1]
	v_mov_b32_e32 v4, s2
	s_cbranch_vccnz .LBB75_4
.LBB75_32:
	v_pk_mov_b32 v[4:5], s[2:3], s[2:3] op_sel:[0,1]
	flat_load_dword v4, v[4:5]
	s_and_b64 vcc, exec, s[0:1]
	v_mov_b32_e32 v5, s3
	s_cbranch_vccz .LBB75_5
	s_branch .LBB75_6
	.section	.rodata,"a",@progbits
	.p2align	6, 0x0
	.amdhsa_kernel _ZN9rocsparseL22bsrxmvn_general_kernelILj64ELj8E21rocsparse_complex_numIfElifS2_S2_EEv20rocsparse_direction_NS_24const_host_device_scalarIT1_EET3_PKS7_PKT2_SC_S9_PKT4_S7_PKT5_S6_PT6_21rocsparse_index_base_b
		.amdhsa_group_segment_fixed_size 0
		.amdhsa_private_segment_fixed_size 0
		.amdhsa_kernarg_size 104
		.amdhsa_user_sgpr_count 6
		.amdhsa_user_sgpr_private_segment_buffer 1
		.amdhsa_user_sgpr_dispatch_ptr 0
		.amdhsa_user_sgpr_queue_ptr 0
		.amdhsa_user_sgpr_kernarg_segment_ptr 1
		.amdhsa_user_sgpr_dispatch_id 0
		.amdhsa_user_sgpr_flat_scratch_init 0
		.amdhsa_user_sgpr_kernarg_preload_length 0
		.amdhsa_user_sgpr_kernarg_preload_offset 0
		.amdhsa_user_sgpr_private_segment_size 0
		.amdhsa_uses_dynamic_stack 0
		.amdhsa_system_sgpr_private_segment_wavefront_offset 0
		.amdhsa_system_sgpr_workgroup_id_x 1
		.amdhsa_system_sgpr_workgroup_id_y 0
		.amdhsa_system_sgpr_workgroup_id_z 0
		.amdhsa_system_sgpr_workgroup_info 0
		.amdhsa_system_vgpr_workitem_id 0
		.amdhsa_next_free_vgpr 29
		.amdhsa_next_free_sgpr 43
		.amdhsa_accum_offset 32
		.amdhsa_reserve_vcc 1
		.amdhsa_reserve_flat_scratch 0
		.amdhsa_float_round_mode_32 0
		.amdhsa_float_round_mode_16_64 0
		.amdhsa_float_denorm_mode_32 3
		.amdhsa_float_denorm_mode_16_64 3
		.amdhsa_dx10_clamp 1
		.amdhsa_ieee_mode 1
		.amdhsa_fp16_overflow 0
		.amdhsa_tg_split 0
		.amdhsa_exception_fp_ieee_invalid_op 0
		.amdhsa_exception_fp_denorm_src 0
		.amdhsa_exception_fp_ieee_div_zero 0
		.amdhsa_exception_fp_ieee_overflow 0
		.amdhsa_exception_fp_ieee_underflow 0
		.amdhsa_exception_fp_ieee_inexact 0
		.amdhsa_exception_int_div_zero 0
	.end_amdhsa_kernel
	.section	.text._ZN9rocsparseL22bsrxmvn_general_kernelILj64ELj8E21rocsparse_complex_numIfElifS2_S2_EEv20rocsparse_direction_NS_24const_host_device_scalarIT1_EET3_PKS7_PKT2_SC_S9_PKT4_S7_PKT5_S6_PT6_21rocsparse_index_base_b,"axG",@progbits,_ZN9rocsparseL22bsrxmvn_general_kernelILj64ELj8E21rocsparse_complex_numIfElifS2_S2_EEv20rocsparse_direction_NS_24const_host_device_scalarIT1_EET3_PKS7_PKT2_SC_S9_PKT4_S7_PKT5_S6_PT6_21rocsparse_index_base_b,comdat
.Lfunc_end75:
	.size	_ZN9rocsparseL22bsrxmvn_general_kernelILj64ELj8E21rocsparse_complex_numIfElifS2_S2_EEv20rocsparse_direction_NS_24const_host_device_scalarIT1_EET3_PKS7_PKT2_SC_S9_PKT4_S7_PKT5_S6_PT6_21rocsparse_index_base_b, .Lfunc_end75-_ZN9rocsparseL22bsrxmvn_general_kernelILj64ELj8E21rocsparse_complex_numIfElifS2_S2_EEv20rocsparse_direction_NS_24const_host_device_scalarIT1_EET3_PKS7_PKT2_SC_S9_PKT4_S7_PKT5_S6_PT6_21rocsparse_index_base_b
                                        ; -- End function
	.section	.AMDGPU.csdata,"",@progbits
; Kernel info:
; codeLenInByte = 1280
; NumSgprs: 47
; NumVgprs: 29
; NumAgprs: 0
; TotalNumVgprs: 29
; ScratchSize: 0
; MemoryBound: 0
; FloatMode: 240
; IeeeMode: 1
; LDSByteSize: 0 bytes/workgroup (compile time only)
; SGPRBlocks: 5
; VGPRBlocks: 3
; NumSGPRsForWavesPerEU: 47
; NumVGPRsForWavesPerEU: 29
; AccumOffset: 32
; Occupancy: 8
; WaveLimiterHint : 1
; COMPUTE_PGM_RSRC2:SCRATCH_EN: 0
; COMPUTE_PGM_RSRC2:USER_SGPR: 6
; COMPUTE_PGM_RSRC2:TRAP_HANDLER: 0
; COMPUTE_PGM_RSRC2:TGID_X_EN: 1
; COMPUTE_PGM_RSRC2:TGID_Y_EN: 0
; COMPUTE_PGM_RSRC2:TGID_Z_EN: 0
; COMPUTE_PGM_RSRC2:TIDIG_COMP_CNT: 0
; COMPUTE_PGM_RSRC3_GFX90A:ACCUM_OFFSET: 7
; COMPUTE_PGM_RSRC3_GFX90A:TG_SPLIT: 0
	.section	.text._ZN9rocsparseL22bsrxmvn_general_kernelILj256ELj16E21rocsparse_complex_numIfElifS2_S2_EEv20rocsparse_direction_NS_24const_host_device_scalarIT1_EET3_PKS7_PKT2_SC_S9_PKT4_S7_PKT5_S6_PT6_21rocsparse_index_base_b,"axG",@progbits,_ZN9rocsparseL22bsrxmvn_general_kernelILj256ELj16E21rocsparse_complex_numIfElifS2_S2_EEv20rocsparse_direction_NS_24const_host_device_scalarIT1_EET3_PKS7_PKT2_SC_S9_PKT4_S7_PKT5_S6_PT6_21rocsparse_index_base_b,comdat
	.globl	_ZN9rocsparseL22bsrxmvn_general_kernelILj256ELj16E21rocsparse_complex_numIfElifS2_S2_EEv20rocsparse_direction_NS_24const_host_device_scalarIT1_EET3_PKS7_PKT2_SC_S9_PKT4_S7_PKT5_S6_PT6_21rocsparse_index_base_b ; -- Begin function _ZN9rocsparseL22bsrxmvn_general_kernelILj256ELj16E21rocsparse_complex_numIfElifS2_S2_EEv20rocsparse_direction_NS_24const_host_device_scalarIT1_EET3_PKS7_PKT2_SC_S9_PKT4_S7_PKT5_S6_PT6_21rocsparse_index_base_b
	.p2align	8
	.type	_ZN9rocsparseL22bsrxmvn_general_kernelILj256ELj16E21rocsparse_complex_numIfElifS2_S2_EEv20rocsparse_direction_NS_24const_host_device_scalarIT1_EET3_PKS7_PKT2_SC_S9_PKT4_S7_PKT5_S6_PT6_21rocsparse_index_base_b,@function
_ZN9rocsparseL22bsrxmvn_general_kernelILj256ELj16E21rocsparse_complex_numIfElifS2_S2_EEv20rocsparse_direction_NS_24const_host_device_scalarIT1_EET3_PKS7_PKT2_SC_S9_PKT4_S7_PKT5_S6_PT6_21rocsparse_index_base_b: ; @_ZN9rocsparseL22bsrxmvn_general_kernelILj256ELj16E21rocsparse_complex_numIfElifS2_S2_EEv20rocsparse_direction_NS_24const_host_device_scalarIT1_EET3_PKS7_PKT2_SC_S9_PKT4_S7_PKT5_S6_PT6_21rocsparse_index_base_b
; %bb.0:
	s_load_dwordx2 s[16:17], s[4:5], 0x60
	s_load_dwordx2 s[8:9], s[4:5], 0x8
	;; [unrolled: 1-line block ×3, first 2 shown]
	s_waitcnt lgkmcnt(0)
	s_bitcmp1_b32 s17, 0
	s_cselect_b64 s[0:1], -1, 0
	s_xor_b64 s[10:11], s[0:1], -1
	s_and_b64 vcc, exec, s[0:1]
	v_mov_b32_e32 v2, s8
	s_cbranch_vccnz .LBB76_2
; %bb.1:
	v_pk_mov_b32 v[2:3], s[8:9], s[8:9] op_sel:[0,1]
	flat_load_dword v2, v[2:3]
.LBB76_2:
	v_cndmask_b32_e64 v1, 0, 1, s[10:11]
	v_cmp_ne_u32_e64 s[0:1], 1, v1
	s_andn2_b64 vcc, exec, s[10:11]
	v_mov_b32_e32 v3, s9
	s_cbranch_vccz .LBB76_31
; %bb.3:
	s_and_b64 vcc, exec, s[0:1]
	v_mov_b32_e32 v4, s2
	s_cbranch_vccz .LBB76_32
.LBB76_4:
	s_and_b64 vcc, exec, s[0:1]
	v_mov_b32_e32 v5, s3
	s_cbranch_vccnz .LBB76_6
.LBB76_5:
	v_pk_mov_b32 v[6:7], s[2:3], s[2:3] op_sel:[0,1]
	flat_load_dword v5, v[6:7] offset:4
.LBB76_6:
	s_waitcnt vmcnt(0) lgkmcnt(0)
	v_and_b32_e32 v1, 0x7fffffff, v2
	v_cmp_eq_u32_e32 vcc, 0, v1
	v_cmp_eq_f32_e64 s[0:1], 0, v3
	s_and_b64 s[8:9], vcc, s[0:1]
	s_mov_b64 s[0:1], -1
	s_and_saveexec_b64 s[2:3], s[8:9]
; %bb.7:
	v_and_b32_e32 v1, 0x7fffffff, v5
	v_cmp_neq_f32_e32 vcc, 1.0, v4
	v_cmp_ne_u32_e64 s[0:1], 0, v1
	s_or_b64 s[0:1], vcc, s[0:1]
	s_orn2_b64 s[0:1], s[0:1], exec
; %bb.8:
	s_or_b64 exec, exec, s[2:3]
	s_and_saveexec_b64 s[2:3], s[0:1]
	s_cbranch_execz .LBB76_30
; %bb.9:
	s_load_dwordx2 s[0:1], s[4:5], 0x18
	s_waitcnt lgkmcnt(0)
	s_cmp_eq_u64 s[0:1], 0
	s_cbranch_scc1 .LBB76_11
; %bb.10:
	s_ashr_i32 s7, s6, 31
	s_lshl_b64 s[2:3], s[6:7], 2
	s_add_u32 s0, s0, s2
	s_addc_u32 s1, s1, s3
	s_load_dword s0, s[0:1], 0x0
	s_waitcnt lgkmcnt(0)
	s_sub_i32 s6, s0, s16
.LBB76_11:
	s_load_dword s17, s[4:5], 0x40
	v_lshrrev_b32_e32 v6, 4, v0
	s_waitcnt lgkmcnt(0)
	v_cmp_gt_i32_e32 vcc, s17, v6
	s_and_b64 exec, exec, vcc
	s_cbranch_execz .LBB76_30
; %bb.12:
	s_load_dwordx8 s[8:15], s[4:5], 0x20
	s_ashr_i32 s7, s6, 31
	s_lshl_b64 s[0:1], s[6:7], 3
	v_and_b32_e32 v1, 0x7fffffff, v4
	s_mul_hi_u32 s33, s17, s17
	s_waitcnt lgkmcnt(0)
	s_add_u32 s2, s8, s0
	s_addc_u32 s3, s9, s1
	s_load_dwordx2 s[30:31], s[2:3], 0x0
	s_load_dwordx2 s[8:9], s[4:5], 0x58
	;; [unrolled: 1-line block ×3, first 2 shown]
	s_mul_i32 s38, s17, s17
	s_load_dword s4, s[4:5], 0x0
	s_waitcnt lgkmcnt(0)
	s_sub_u32 s24, s30, s16
	s_subb_u32 s25, s31, 0
	s_add_u32 s2, s2, 8
	s_addc_u32 s3, s3, 0
	s_add_u32 s0, s10, s0
	s_addc_u32 s1, s11, s1
	s_cmp_eq_u64 s[10:11], 0
	s_cselect_b32 s1, s3, s1
	s_cselect_b32 s0, s2, s0
	s_load_dwordx2 s[2:3], s[0:1], 0x0
	v_cmp_eq_u32_e32 vcc, 0, v1
	v_and_b32_e32 v0, 15, v0
	v_mov_b32_e32 v1, 0
	v_cmp_gt_u32_e64 s[0:1], s17, v0
	s_waitcnt lgkmcnt(0)
	s_sub_u32 s10, s2, s16
	s_subb_u32 s11, s3, 0
	v_pk_mov_b32 v[14:15], s[2:3], s[2:3] op_sel:[0,1]
	s_cmp_lg_u32 s4, 0
	v_cmp_eq_f32_e64 s[4:5], 0, v5
	s_cselect_b64 s[26:27], -1, 0
	s_and_b64 s[28:29], vcc, s[4:5]
	s_mul_i32 s4, s24, s33
	s_mul_hi_u32 s5, s24, s38
	v_cmp_lt_i64_e32 vcc, s[30:31], v[14:15]
	v_cmp_eq_u32_e64 s[2:3], 15, v0
	s_add_i32 s4, s5, s4
	s_mul_i32 s5, s25, s38
	v_pk_mov_b32 v[12:13], v[0:1], v[0:1] op_sel:[0,1]
	v_mul_lo_u32 v27, s17, v0
	v_cndmask_b32_e64 v0, 0, 1, vcc
	s_mov_b32 s20, 0
	s_mov_b64 s[22:23], 0
	v_xor_b32_e32 v8, 0x80000000, v3
	s_mul_i32 s39, s6, s17
	v_xor_b32_e32 v10, 0x80000000, v5
	v_mov_b32_e32 v9, v2
	v_mov_b32_e32 v11, v4
	s_add_i32 s40, s4, s5
	s_mul_i32 s41, s24, s38
	v_mul_lo_u32 v26, s17, v6
	s_lshl_b32 s42, s17, 4
	v_cmp_ne_u32_e64 s[4:5], 1, v0
	v_bfrev_b32_e32 v14, 1
	s_branch .LBB76_14
.LBB76_13:                              ;   in Loop: Header=BB76_14 Depth=1
	s_or_b64 exec, exec, s[6:7]
	v_add_u32_e32 v6, 16, v6
	v_cmp_le_i32_e32 vcc, s17, v6
	s_or_b64 s[22:23], vcc, s[22:23]
	v_add_u32_e32 v26, s42, v26
	s_andn2_b64 exec, exec, s[22:23]
	s_cbranch_execz .LBB76_30
.LBB76_14:                              ; =>This Loop Header: Depth=1
                                        ;     Child Loop BB76_18 Depth 2
                                        ;       Child Loop BB76_21 Depth 3
	s_mov_b32 s21, s20
	s_and_b64 vcc, exec, s[4:5]
	v_pk_mov_b32 v[16:17], s[20:21], s[20:21] op_sel:[0,1]
	s_cbranch_vccnz .LBB76_25
; %bb.15:                               ;   in Loop: Header=BB76_14 Depth=1
	v_ashrrev_i32_e32 v0, 31, v26
	v_mov_b32_e32 v7, s40
	v_add_co_u32_e32 v18, vcc, s41, v26
	v_addc_co_u32_e32 v19, vcc, v7, v0, vcc
	v_ashrrev_i32_e32 v7, 31, v6
	v_pk_mov_b32 v[16:17], s[20:21], s[20:21] op_sel:[0,1]
	s_mov_b64 s[6:7], s[24:25]
	s_branch .LBB76_18
.LBB76_16:                              ;   in Loop: Header=BB76_18 Depth=2
	s_or_b64 exec, exec, s[34:35]
.LBB76_17:                              ;   in Loop: Header=BB76_18 Depth=2
	s_or_b64 exec, exec, s[30:31]
	s_add_u32 s6, s6, 1
	v_mov_b32_e32 v0, s33
	v_add_co_u32_e32 v18, vcc, s38, v18
	s_addc_u32 s7, s7, 0
	v_addc_co_u32_e32 v19, vcc, v19, v0, vcc
	v_pk_mov_b32 v[20:21], s[10:11], s[10:11] op_sel:[0,1]
	v_cmp_ge_i64_e32 vcc, s[6:7], v[20:21]
	s_cbranch_vccnz .LBB76_25
.LBB76_18:                              ;   Parent Loop BB76_14 Depth=1
                                        ; =>  This Loop Header: Depth=2
                                        ;       Child Loop BB76_21 Depth 3
	s_and_saveexec_b64 s[30:31], s[0:1]
	s_cbranch_execz .LBB76_17
; %bb.19:                               ;   in Loop: Header=BB76_18 Depth=2
	s_lshl_b64 s[34:35], s[6:7], 2
	s_add_u32 s34, s12, s34
	s_addc_u32 s35, s13, s35
	s_load_dword s21, s[34:35], 0x0
	s_mul_i32 s34, s33, s6
	s_mul_i32 s35, s38, s7
	v_mov_b32_e32 v0, s6
	s_add_i32 s36, s35, s34
	s_waitcnt lgkmcnt(0)
	s_sub_i32 s21, s21, s16
	v_mad_u64_u32 v[20:21], s[34:35], s38, v0, v[6:7]
	v_add_u32_e32 v21, s36, v21
	s_mul_i32 s21, s21, s17
	s_mov_b64 s[34:35], 0
	v_mov_b32_e32 v28, v27
	v_pk_mov_b32 v[22:23], v[12:13], v[12:13] op_sel:[0,1]
	s_branch .LBB76_21
.LBB76_20:                              ;   in Loop: Header=BB76_21 Depth=3
	v_lshlrev_b64 v[24:25], 2, v[24:25]
	v_mov_b32_e32 v0, s15
	v_add_co_u32_e32 v24, vcc, s14, v24
	v_addc_co_u32_e32 v25, vcc, v0, v25, vcc
	global_load_dword v0, v[24:25], off
	v_add_u32_e32 v24, s21, v22
	v_ashrrev_i32_e32 v25, 31, v24
	v_lshlrev_b64 v[24:25], 3, v[24:25]
	v_mov_b32_e32 v15, s19
	v_add_co_u32_e32 v24, vcc, s18, v24
	v_addc_co_u32_e32 v25, vcc, v15, v25, vcc
	global_load_dwordx2 v[24:25], v[24:25], off
	v_add_co_u32_e32 v22, vcc, 16, v22
	v_addc_co_u32_e32 v23, vcc, 0, v23, vcc
	v_cmp_le_i32_e32 vcc, s17, v22
	s_or_b64 s[34:35], vcc, s[34:35]
	v_add_u32_e32 v28, s42, v28
	s_waitcnt vmcnt(1)
	v_mov_b32_e32 v15, v0
	s_waitcnt vmcnt(0)
	v_pk_fma_f32 v[16:17], v[24:25], v[0:1], v[16:17] op_sel_hi:[0,1,1]
	v_pk_fma_f32 v[16:17], v[24:25], v[14:15], v[16:17] op_sel:[1,0,0]
	s_andn2_b64 exec, exec, s[34:35]
	s_cbranch_execz .LBB76_16
.LBB76_21:                              ;   Parent Loop BB76_14 Depth=1
                                        ;     Parent Loop BB76_18 Depth=2
                                        ; =>    This Inner Loop Header: Depth=3
	s_and_b64 vcc, exec, s[26:27]
	s_cbranch_vccz .LBB76_23
; %bb.22:                               ;   in Loop: Header=BB76_21 Depth=3
	v_ashrrev_i32_e32 v0, 31, v28
	v_add_co_u32_e32 v24, vcc, v20, v28
	v_addc_co_u32_e32 v25, vcc, v21, v0, vcc
	s_cbranch_execnz .LBB76_20
	s_branch .LBB76_24
.LBB76_23:                              ;   in Loop: Header=BB76_21 Depth=3
                                        ; implicit-def: $vgpr24_vgpr25
.LBB76_24:                              ;   in Loop: Header=BB76_21 Depth=3
	v_add_co_u32_e32 v24, vcc, v18, v22
	v_addc_co_u32_e32 v25, vcc, v19, v23, vcc
	s_branch .LBB76_20
.LBB76_25:                              ;   in Loop: Header=BB76_14 Depth=1
	s_nop 0
	v_mov_b32_dpp v0, v16 row_shr:1 row_mask:0xf bank_mask:0xf
	v_mov_b32_dpp v15, v17 row_shr:1 row_mask:0xf bank_mask:0xf
	v_add_f32_e32 v0, v16, v0
	v_add_f32_e32 v15, v17, v15
	s_nop 0
	v_mov_b32_dpp v7, v0 row_shr:2 row_mask:0xf bank_mask:0xf
	v_mov_b32_dpp v16, v15 row_shr:2 row_mask:0xf bank_mask:0xf
	v_add_f32_e32 v0, v0, v7
	v_add_f32_e32 v15, v15, v16
	;; [unrolled: 5-line block ×3, first 2 shown]
	s_nop 0
	v_mov_b32_dpp v7, v0 row_shr:8 row_mask:0xf bank_mask:0xc
	v_mov_b32_dpp v16, v15 row_shr:8 row_mask:0xf bank_mask:0xc
	s_and_saveexec_b64 s[6:7], s[2:3]
	s_cbranch_execz .LBB76_13
; %bb.26:                               ;   in Loop: Header=BB76_14 Depth=1
	v_add_u32_e32 v18, s39, v6
	v_add_f32_e32 v0, v0, v7
	v_add_f32_e32 v16, v15, v16
	v_ashrrev_i32_e32 v19, 31, v18
	s_and_saveexec_b64 s[30:31], s[28:29]
	s_xor_b64 s[30:31], exec, s[30:31]
	s_cbranch_execz .LBB76_28
; %bb.27:                               ;   in Loop: Header=BB76_14 Depth=1
	v_lshlrev_b64 v[18:19], 3, v[18:19]
	v_mov_b32_e32 v7, s9
	v_add_co_u32_e32 v18, vcc, s8, v18
	v_pk_mul_f32 v[16:17], v[16:17], v[8:9] op_sel_hi:[0,1]
	v_addc_co_u32_e32 v19, vcc, v7, v19, vcc
	v_pk_fma_f32 v[16:17], v[2:3], v[0:1], v[16:17] op_sel_hi:[1,0,1]
	global_store_dwordx2 v[18:19], v[16:17], off
                                        ; implicit-def: $vgpr18
                                        ; implicit-def: $vgpr16
                                        ; implicit-def: $vgpr0
.LBB76_28:                              ;   in Loop: Header=BB76_14 Depth=1
	s_andn2_saveexec_b64 s[30:31], s[30:31]
	s_cbranch_execz .LBB76_13
; %bb.29:                               ;   in Loop: Header=BB76_14 Depth=1
	v_lshlrev_b64 v[18:19], 3, v[18:19]
	v_mov_b32_e32 v7, s9
	v_add_co_u32_e32 v18, vcc, s8, v18
	v_addc_co_u32_e32 v19, vcc, v7, v19, vcc
	global_load_dwordx2 v[20:21], v[18:19], off
	v_pk_mul_f32 v[16:17], v[16:17], v[8:9] op_sel_hi:[0,1]
	v_pk_fma_f32 v[16:17], v[2:3], v[0:1], v[16:17] op_sel_hi:[1,0,1]
	s_waitcnt vmcnt(0)
	v_pk_fma_f32 v[16:17], v[4:5], v[20:21], v[16:17] op_sel_hi:[1,0,1]
	v_pk_fma_f32 v[16:17], v[10:11], v[20:21], v[16:17] op_sel:[0,1,0]
	global_store_dwordx2 v[18:19], v[16:17], off
	s_branch .LBB76_13
.LBB76_30:
	s_endpgm
.LBB76_31:
	v_pk_mov_b32 v[4:5], s[8:9], s[8:9] op_sel:[0,1]
	flat_load_dword v3, v[4:5] offset:4
	s_and_b64 vcc, exec, s[0:1]
	v_mov_b32_e32 v4, s2
	s_cbranch_vccnz .LBB76_4
.LBB76_32:
	v_pk_mov_b32 v[4:5], s[2:3], s[2:3] op_sel:[0,1]
	flat_load_dword v4, v[4:5]
	s_and_b64 vcc, exec, s[0:1]
	v_mov_b32_e32 v5, s3
	s_cbranch_vccz .LBB76_5
	s_branch .LBB76_6
	.section	.rodata,"a",@progbits
	.p2align	6, 0x0
	.amdhsa_kernel _ZN9rocsparseL22bsrxmvn_general_kernelILj256ELj16E21rocsparse_complex_numIfElifS2_S2_EEv20rocsparse_direction_NS_24const_host_device_scalarIT1_EET3_PKS7_PKT2_SC_S9_PKT4_S7_PKT5_S6_PT6_21rocsparse_index_base_b
		.amdhsa_group_segment_fixed_size 0
		.amdhsa_private_segment_fixed_size 0
		.amdhsa_kernarg_size 104
		.amdhsa_user_sgpr_count 6
		.amdhsa_user_sgpr_private_segment_buffer 1
		.amdhsa_user_sgpr_dispatch_ptr 0
		.amdhsa_user_sgpr_queue_ptr 0
		.amdhsa_user_sgpr_kernarg_segment_ptr 1
		.amdhsa_user_sgpr_dispatch_id 0
		.amdhsa_user_sgpr_flat_scratch_init 0
		.amdhsa_user_sgpr_kernarg_preload_length 0
		.amdhsa_user_sgpr_kernarg_preload_offset 0
		.amdhsa_user_sgpr_private_segment_size 0
		.amdhsa_uses_dynamic_stack 0
		.amdhsa_system_sgpr_private_segment_wavefront_offset 0
		.amdhsa_system_sgpr_workgroup_id_x 1
		.amdhsa_system_sgpr_workgroup_id_y 0
		.amdhsa_system_sgpr_workgroup_id_z 0
		.amdhsa_system_sgpr_workgroup_info 0
		.amdhsa_system_vgpr_workitem_id 0
		.amdhsa_next_free_vgpr 29
		.amdhsa_next_free_sgpr 43
		.amdhsa_accum_offset 32
		.amdhsa_reserve_vcc 1
		.amdhsa_reserve_flat_scratch 0
		.amdhsa_float_round_mode_32 0
		.amdhsa_float_round_mode_16_64 0
		.amdhsa_float_denorm_mode_32 3
		.amdhsa_float_denorm_mode_16_64 3
		.amdhsa_dx10_clamp 1
		.amdhsa_ieee_mode 1
		.amdhsa_fp16_overflow 0
		.amdhsa_tg_split 0
		.amdhsa_exception_fp_ieee_invalid_op 0
		.amdhsa_exception_fp_denorm_src 0
		.amdhsa_exception_fp_ieee_div_zero 0
		.amdhsa_exception_fp_ieee_overflow 0
		.amdhsa_exception_fp_ieee_underflow 0
		.amdhsa_exception_fp_ieee_inexact 0
		.amdhsa_exception_int_div_zero 0
	.end_amdhsa_kernel
	.section	.text._ZN9rocsparseL22bsrxmvn_general_kernelILj256ELj16E21rocsparse_complex_numIfElifS2_S2_EEv20rocsparse_direction_NS_24const_host_device_scalarIT1_EET3_PKS7_PKT2_SC_S9_PKT4_S7_PKT5_S6_PT6_21rocsparse_index_base_b,"axG",@progbits,_ZN9rocsparseL22bsrxmvn_general_kernelILj256ELj16E21rocsparse_complex_numIfElifS2_S2_EEv20rocsparse_direction_NS_24const_host_device_scalarIT1_EET3_PKS7_PKT2_SC_S9_PKT4_S7_PKT5_S6_PT6_21rocsparse_index_base_b,comdat
.Lfunc_end76:
	.size	_ZN9rocsparseL22bsrxmvn_general_kernelILj256ELj16E21rocsparse_complex_numIfElifS2_S2_EEv20rocsparse_direction_NS_24const_host_device_scalarIT1_EET3_PKS7_PKT2_SC_S9_PKT4_S7_PKT5_S6_PT6_21rocsparse_index_base_b, .Lfunc_end76-_ZN9rocsparseL22bsrxmvn_general_kernelILj256ELj16E21rocsparse_complex_numIfElifS2_S2_EEv20rocsparse_direction_NS_24const_host_device_scalarIT1_EET3_PKS7_PKT2_SC_S9_PKT4_S7_PKT5_S6_PT6_21rocsparse_index_base_b
                                        ; -- End function
	.section	.AMDGPU.csdata,"",@progbits
; Kernel info:
; codeLenInByte = 1308
; NumSgprs: 47
; NumVgprs: 29
; NumAgprs: 0
; TotalNumVgprs: 29
; ScratchSize: 0
; MemoryBound: 0
; FloatMode: 240
; IeeeMode: 1
; LDSByteSize: 0 bytes/workgroup (compile time only)
; SGPRBlocks: 5
; VGPRBlocks: 3
; NumSGPRsForWavesPerEU: 47
; NumVGPRsForWavesPerEU: 29
; AccumOffset: 32
; Occupancy: 8
; WaveLimiterHint : 1
; COMPUTE_PGM_RSRC2:SCRATCH_EN: 0
; COMPUTE_PGM_RSRC2:USER_SGPR: 6
; COMPUTE_PGM_RSRC2:TRAP_HANDLER: 0
; COMPUTE_PGM_RSRC2:TGID_X_EN: 1
; COMPUTE_PGM_RSRC2:TGID_Y_EN: 0
; COMPUTE_PGM_RSRC2:TGID_Z_EN: 0
; COMPUTE_PGM_RSRC2:TIDIG_COMP_CNT: 0
; COMPUTE_PGM_RSRC3_GFX90A:ACCUM_OFFSET: 7
; COMPUTE_PGM_RSRC3_GFX90A:TG_SPLIT: 0
	.section	.text._ZN9rocsparseL22bsrxmvn_general_kernelILj1024ELj32E21rocsparse_complex_numIfElifS2_S2_EEv20rocsparse_direction_NS_24const_host_device_scalarIT1_EET3_PKS7_PKT2_SC_S9_PKT4_S7_PKT5_S6_PT6_21rocsparse_index_base_b,"axG",@progbits,_ZN9rocsparseL22bsrxmvn_general_kernelILj1024ELj32E21rocsparse_complex_numIfElifS2_S2_EEv20rocsparse_direction_NS_24const_host_device_scalarIT1_EET3_PKS7_PKT2_SC_S9_PKT4_S7_PKT5_S6_PT6_21rocsparse_index_base_b,comdat
	.globl	_ZN9rocsparseL22bsrxmvn_general_kernelILj1024ELj32E21rocsparse_complex_numIfElifS2_S2_EEv20rocsparse_direction_NS_24const_host_device_scalarIT1_EET3_PKS7_PKT2_SC_S9_PKT4_S7_PKT5_S6_PT6_21rocsparse_index_base_b ; -- Begin function _ZN9rocsparseL22bsrxmvn_general_kernelILj1024ELj32E21rocsparse_complex_numIfElifS2_S2_EEv20rocsparse_direction_NS_24const_host_device_scalarIT1_EET3_PKS7_PKT2_SC_S9_PKT4_S7_PKT5_S6_PT6_21rocsparse_index_base_b
	.p2align	8
	.type	_ZN9rocsparseL22bsrxmvn_general_kernelILj1024ELj32E21rocsparse_complex_numIfElifS2_S2_EEv20rocsparse_direction_NS_24const_host_device_scalarIT1_EET3_PKS7_PKT2_SC_S9_PKT4_S7_PKT5_S6_PT6_21rocsparse_index_base_b,@function
_ZN9rocsparseL22bsrxmvn_general_kernelILj1024ELj32E21rocsparse_complex_numIfElifS2_S2_EEv20rocsparse_direction_NS_24const_host_device_scalarIT1_EET3_PKS7_PKT2_SC_S9_PKT4_S7_PKT5_S6_PT6_21rocsparse_index_base_b: ; @_ZN9rocsparseL22bsrxmvn_general_kernelILj1024ELj32E21rocsparse_complex_numIfElifS2_S2_EEv20rocsparse_direction_NS_24const_host_device_scalarIT1_EET3_PKS7_PKT2_SC_S9_PKT4_S7_PKT5_S6_PT6_21rocsparse_index_base_b
; %bb.0:
	s_load_dwordx2 s[16:17], s[4:5], 0x60
	s_load_dwordx2 s[8:9], s[4:5], 0x8
	;; [unrolled: 1-line block ×3, first 2 shown]
	s_waitcnt lgkmcnt(0)
	s_bitcmp1_b32 s17, 0
	s_cselect_b64 s[0:1], -1, 0
	s_xor_b64 s[10:11], s[0:1], -1
	s_and_b64 vcc, exec, s[0:1]
	v_mov_b32_e32 v2, s8
	s_cbranch_vccnz .LBB77_2
; %bb.1:
	v_pk_mov_b32 v[2:3], s[8:9], s[8:9] op_sel:[0,1]
	flat_load_dword v2, v[2:3]
.LBB77_2:
	v_cndmask_b32_e64 v1, 0, 1, s[10:11]
	v_cmp_ne_u32_e64 s[0:1], 1, v1
	s_andn2_b64 vcc, exec, s[10:11]
	v_mov_b32_e32 v3, s9
	s_cbranch_vccz .LBB77_31
; %bb.3:
	s_and_b64 vcc, exec, s[0:1]
	v_mov_b32_e32 v4, s2
	s_cbranch_vccz .LBB77_32
.LBB77_4:
	s_and_b64 vcc, exec, s[0:1]
	v_mov_b32_e32 v5, s3
	s_cbranch_vccnz .LBB77_6
.LBB77_5:
	v_pk_mov_b32 v[6:7], s[2:3], s[2:3] op_sel:[0,1]
	flat_load_dword v5, v[6:7] offset:4
.LBB77_6:
	s_waitcnt vmcnt(0) lgkmcnt(0)
	v_and_b32_e32 v1, 0x7fffffff, v2
	v_cmp_eq_u32_e32 vcc, 0, v1
	v_cmp_eq_f32_e64 s[0:1], 0, v3
	s_and_b64 s[8:9], vcc, s[0:1]
	s_mov_b64 s[0:1], -1
	s_and_saveexec_b64 s[2:3], s[8:9]
; %bb.7:
	v_and_b32_e32 v1, 0x7fffffff, v5
	v_cmp_neq_f32_e32 vcc, 1.0, v4
	v_cmp_ne_u32_e64 s[0:1], 0, v1
	s_or_b64 s[0:1], vcc, s[0:1]
	s_orn2_b64 s[0:1], s[0:1], exec
; %bb.8:
	s_or_b64 exec, exec, s[2:3]
	s_and_saveexec_b64 s[2:3], s[0:1]
	s_cbranch_execz .LBB77_30
; %bb.9:
	s_load_dwordx2 s[0:1], s[4:5], 0x18
	s_waitcnt lgkmcnt(0)
	s_cmp_eq_u64 s[0:1], 0
	s_cbranch_scc1 .LBB77_11
; %bb.10:
	s_ashr_i32 s7, s6, 31
	s_lshl_b64 s[2:3], s[6:7], 2
	s_add_u32 s0, s0, s2
	s_addc_u32 s1, s1, s3
	s_load_dword s0, s[0:1], 0x0
	s_waitcnt lgkmcnt(0)
	s_sub_i32 s6, s0, s16
.LBB77_11:
	s_load_dword s17, s[4:5], 0x40
	v_lshrrev_b32_e32 v6, 5, v0
	s_waitcnt lgkmcnt(0)
	v_cmp_gt_i32_e32 vcc, s17, v6
	s_and_b64 exec, exec, vcc
	s_cbranch_execz .LBB77_30
; %bb.12:
	s_load_dwordx8 s[8:15], s[4:5], 0x20
	s_ashr_i32 s7, s6, 31
	s_lshl_b64 s[0:1], s[6:7], 3
	v_and_b32_e32 v1, 0x7fffffff, v4
	s_mul_hi_u32 s33, s17, s17
	s_waitcnt lgkmcnt(0)
	s_add_u32 s2, s8, s0
	s_addc_u32 s3, s9, s1
	s_load_dwordx2 s[30:31], s[2:3], 0x0
	s_load_dwordx2 s[8:9], s[4:5], 0x58
	;; [unrolled: 1-line block ×3, first 2 shown]
	s_mul_i32 s38, s17, s17
	s_load_dword s4, s[4:5], 0x0
	s_waitcnt lgkmcnt(0)
	s_sub_u32 s24, s30, s16
	s_subb_u32 s25, s31, 0
	s_add_u32 s2, s2, 8
	s_addc_u32 s3, s3, 0
	s_add_u32 s0, s10, s0
	s_addc_u32 s1, s11, s1
	s_cmp_eq_u64 s[10:11], 0
	s_cselect_b32 s1, s3, s1
	s_cselect_b32 s0, s2, s0
	s_load_dwordx2 s[2:3], s[0:1], 0x0
	v_cmp_eq_u32_e32 vcc, 0, v1
	v_and_b32_e32 v0, 31, v0
	v_mov_b32_e32 v1, 0
	v_cmp_gt_u32_e64 s[0:1], s17, v0
	s_waitcnt lgkmcnt(0)
	s_sub_u32 s10, s2, s16
	s_subb_u32 s11, s3, 0
	v_pk_mov_b32 v[14:15], s[2:3], s[2:3] op_sel:[0,1]
	s_cmp_lg_u32 s4, 0
	v_cmp_eq_f32_e64 s[4:5], 0, v5
	s_cselect_b64 s[26:27], -1, 0
	s_and_b64 s[28:29], vcc, s[4:5]
	s_mul_i32 s4, s24, s33
	s_mul_hi_u32 s5, s24, s38
	v_cmp_lt_i64_e32 vcc, s[30:31], v[14:15]
	v_cmp_eq_u32_e64 s[2:3], 31, v0
	s_add_i32 s4, s5, s4
	s_mul_i32 s5, s25, s38
	v_pk_mov_b32 v[12:13], v[0:1], v[0:1] op_sel:[0,1]
	v_mul_lo_u32 v27, s17, v0
	v_cndmask_b32_e64 v0, 0, 1, vcc
	s_mov_b32 s20, 0
	s_mov_b64 s[22:23], 0
	v_xor_b32_e32 v8, 0x80000000, v3
	s_mul_i32 s39, s6, s17
	v_xor_b32_e32 v10, 0x80000000, v5
	v_mov_b32_e32 v9, v2
	v_mov_b32_e32 v11, v4
	s_add_i32 s40, s4, s5
	s_mul_i32 s41, s24, s38
	v_mul_lo_u32 v26, s17, v6
	s_lshl_b32 s42, s17, 5
	v_cmp_ne_u32_e64 s[4:5], 1, v0
	v_bfrev_b32_e32 v14, 1
	s_branch .LBB77_14
.LBB77_13:                              ;   in Loop: Header=BB77_14 Depth=1
	s_or_b64 exec, exec, s[6:7]
	v_add_u32_e32 v6, 32, v6
	v_cmp_le_i32_e32 vcc, s17, v6
	s_or_b64 s[22:23], vcc, s[22:23]
	v_add_u32_e32 v26, s42, v26
	s_andn2_b64 exec, exec, s[22:23]
	s_cbranch_execz .LBB77_30
.LBB77_14:                              ; =>This Loop Header: Depth=1
                                        ;     Child Loop BB77_18 Depth 2
                                        ;       Child Loop BB77_21 Depth 3
	s_mov_b32 s21, s20
	s_and_b64 vcc, exec, s[4:5]
	v_pk_mov_b32 v[16:17], s[20:21], s[20:21] op_sel:[0,1]
	s_cbranch_vccnz .LBB77_25
; %bb.15:                               ;   in Loop: Header=BB77_14 Depth=1
	v_ashrrev_i32_e32 v0, 31, v26
	v_mov_b32_e32 v7, s40
	v_add_co_u32_e32 v18, vcc, s41, v26
	v_addc_co_u32_e32 v19, vcc, v7, v0, vcc
	v_mov_b32_e32 v7, v1
	v_pk_mov_b32 v[16:17], s[20:21], s[20:21] op_sel:[0,1]
	s_mov_b64 s[6:7], s[24:25]
	s_branch .LBB77_18
.LBB77_16:                              ;   in Loop: Header=BB77_18 Depth=2
	s_or_b64 exec, exec, s[34:35]
.LBB77_17:                              ;   in Loop: Header=BB77_18 Depth=2
	s_or_b64 exec, exec, s[30:31]
	s_add_u32 s6, s6, 1
	v_mov_b32_e32 v0, s33
	v_add_co_u32_e32 v18, vcc, s38, v18
	s_addc_u32 s7, s7, 0
	v_addc_co_u32_e32 v19, vcc, v19, v0, vcc
	v_pk_mov_b32 v[20:21], s[10:11], s[10:11] op_sel:[0,1]
	v_cmp_ge_i64_e32 vcc, s[6:7], v[20:21]
	s_cbranch_vccnz .LBB77_25
.LBB77_18:                              ;   Parent Loop BB77_14 Depth=1
                                        ; =>  This Loop Header: Depth=2
                                        ;       Child Loop BB77_21 Depth 3
	s_and_saveexec_b64 s[30:31], s[0:1]
	s_cbranch_execz .LBB77_17
; %bb.19:                               ;   in Loop: Header=BB77_18 Depth=2
	s_lshl_b64 s[34:35], s[6:7], 2
	s_add_u32 s34, s12, s34
	s_addc_u32 s35, s13, s35
	s_load_dword s21, s[34:35], 0x0
	s_mul_i32 s34, s33, s6
	s_mul_i32 s35, s38, s7
	v_mov_b32_e32 v0, s6
	s_add_i32 s36, s35, s34
	s_waitcnt lgkmcnt(0)
	s_sub_i32 s21, s21, s16
	v_mad_u64_u32 v[20:21], s[34:35], s38, v0, v[6:7]
	v_add_u32_e32 v21, s36, v21
	s_mul_i32 s21, s21, s17
	s_mov_b64 s[34:35], 0
	v_mov_b32_e32 v28, v27
	v_pk_mov_b32 v[22:23], v[12:13], v[12:13] op_sel:[0,1]
	s_branch .LBB77_21
.LBB77_20:                              ;   in Loop: Header=BB77_21 Depth=3
	v_lshlrev_b64 v[24:25], 2, v[24:25]
	v_mov_b32_e32 v0, s15
	v_add_co_u32_e32 v24, vcc, s14, v24
	v_addc_co_u32_e32 v25, vcc, v0, v25, vcc
	global_load_dword v0, v[24:25], off
	v_add_u32_e32 v24, s21, v22
	v_ashrrev_i32_e32 v25, 31, v24
	v_lshlrev_b64 v[24:25], 3, v[24:25]
	v_mov_b32_e32 v15, s19
	v_add_co_u32_e32 v24, vcc, s18, v24
	v_addc_co_u32_e32 v25, vcc, v15, v25, vcc
	global_load_dwordx2 v[24:25], v[24:25], off
	v_add_co_u32_e32 v22, vcc, 32, v22
	v_addc_co_u32_e32 v23, vcc, 0, v23, vcc
	v_cmp_le_i32_e32 vcc, s17, v22
	s_or_b64 s[34:35], vcc, s[34:35]
	v_add_u32_e32 v28, s42, v28
	s_waitcnt vmcnt(1)
	v_mov_b32_e32 v15, v0
	s_waitcnt vmcnt(0)
	v_pk_fma_f32 v[16:17], v[24:25], v[0:1], v[16:17] op_sel_hi:[0,1,1]
	v_pk_fma_f32 v[16:17], v[24:25], v[14:15], v[16:17] op_sel:[1,0,0]
	s_andn2_b64 exec, exec, s[34:35]
	s_cbranch_execz .LBB77_16
.LBB77_21:                              ;   Parent Loop BB77_14 Depth=1
                                        ;     Parent Loop BB77_18 Depth=2
                                        ; =>    This Inner Loop Header: Depth=3
	s_and_b64 vcc, exec, s[26:27]
	s_cbranch_vccz .LBB77_23
; %bb.22:                               ;   in Loop: Header=BB77_21 Depth=3
	v_ashrrev_i32_e32 v0, 31, v28
	v_add_co_u32_e32 v24, vcc, v20, v28
	v_addc_co_u32_e32 v25, vcc, v21, v0, vcc
	s_cbranch_execnz .LBB77_20
	s_branch .LBB77_24
.LBB77_23:                              ;   in Loop: Header=BB77_21 Depth=3
                                        ; implicit-def: $vgpr24_vgpr25
.LBB77_24:                              ;   in Loop: Header=BB77_21 Depth=3
	v_add_co_u32_e32 v24, vcc, v18, v22
	v_addc_co_u32_e32 v25, vcc, v19, v23, vcc
	s_branch .LBB77_20
.LBB77_25:                              ;   in Loop: Header=BB77_14 Depth=1
	s_nop 0
	v_mov_b32_dpp v0, v16 row_shr:1 row_mask:0xf bank_mask:0xf
	v_mov_b32_dpp v15, v17 row_shr:1 row_mask:0xf bank_mask:0xf
	v_add_f32_e32 v0, v16, v0
	v_add_f32_e32 v15, v17, v15
	s_nop 0
	v_mov_b32_dpp v7, v0 row_shr:2 row_mask:0xf bank_mask:0xf
	v_mov_b32_dpp v16, v15 row_shr:2 row_mask:0xf bank_mask:0xf
	v_add_f32_e32 v0, v0, v7
	v_add_f32_e32 v15, v15, v16
	s_nop 0
	v_mov_b32_dpp v7, v0 row_shr:4 row_mask:0xf bank_mask:0xe
	v_mov_b32_dpp v16, v15 row_shr:4 row_mask:0xf bank_mask:0xe
	v_add_f32_e32 v0, v0, v7
	v_add_f32_e32 v15, v15, v16
	s_nop 0
	v_mov_b32_dpp v7, v0 row_shr:8 row_mask:0xf bank_mask:0xc
	v_mov_b32_dpp v16, v15 row_shr:8 row_mask:0xf bank_mask:0xc
	v_add_f32_e32 v0, v0, v7
	v_add_f32_e32 v15, v15, v16
	s_nop 0
	v_mov_b32_dpp v7, v0 row_bcast:15 row_mask:0xa bank_mask:0xf
	v_mov_b32_dpp v16, v15 row_bcast:15 row_mask:0xa bank_mask:0xf
	s_and_saveexec_b64 s[6:7], s[2:3]
	s_cbranch_execz .LBB77_13
; %bb.26:                               ;   in Loop: Header=BB77_14 Depth=1
	v_add_u32_e32 v18, s39, v6
	v_add_f32_e32 v0, v0, v7
	v_add_f32_e32 v16, v15, v16
	v_ashrrev_i32_e32 v19, 31, v18
	s_and_saveexec_b64 s[30:31], s[28:29]
	s_xor_b64 s[30:31], exec, s[30:31]
	s_cbranch_execz .LBB77_28
; %bb.27:                               ;   in Loop: Header=BB77_14 Depth=1
	v_lshlrev_b64 v[18:19], 3, v[18:19]
	v_mov_b32_e32 v7, s9
	v_add_co_u32_e32 v18, vcc, s8, v18
	v_pk_mul_f32 v[16:17], v[16:17], v[8:9] op_sel_hi:[0,1]
	v_addc_co_u32_e32 v19, vcc, v7, v19, vcc
	v_pk_fma_f32 v[16:17], v[2:3], v[0:1], v[16:17] op_sel_hi:[1,0,1]
	global_store_dwordx2 v[18:19], v[16:17], off
                                        ; implicit-def: $vgpr18
                                        ; implicit-def: $vgpr16
                                        ; implicit-def: $vgpr0
.LBB77_28:                              ;   in Loop: Header=BB77_14 Depth=1
	s_andn2_saveexec_b64 s[30:31], s[30:31]
	s_cbranch_execz .LBB77_13
; %bb.29:                               ;   in Loop: Header=BB77_14 Depth=1
	v_lshlrev_b64 v[18:19], 3, v[18:19]
	v_mov_b32_e32 v7, s9
	v_add_co_u32_e32 v18, vcc, s8, v18
	v_addc_co_u32_e32 v19, vcc, v7, v19, vcc
	global_load_dwordx2 v[20:21], v[18:19], off
	v_pk_mul_f32 v[16:17], v[16:17], v[8:9] op_sel_hi:[0,1]
	v_pk_fma_f32 v[16:17], v[2:3], v[0:1], v[16:17] op_sel_hi:[1,0,1]
	s_waitcnt vmcnt(0)
	v_pk_fma_f32 v[16:17], v[4:5], v[20:21], v[16:17] op_sel_hi:[1,0,1]
	v_pk_fma_f32 v[16:17], v[10:11], v[20:21], v[16:17] op_sel:[0,1,0]
	global_store_dwordx2 v[18:19], v[16:17], off
	s_branch .LBB77_13
.LBB77_30:
	s_endpgm
.LBB77_31:
	v_pk_mov_b32 v[4:5], s[8:9], s[8:9] op_sel:[0,1]
	flat_load_dword v3, v[4:5] offset:4
	s_and_b64 vcc, exec, s[0:1]
	v_mov_b32_e32 v4, s2
	s_cbranch_vccnz .LBB77_4
.LBB77_32:
	v_pk_mov_b32 v[4:5], s[2:3], s[2:3] op_sel:[0,1]
	flat_load_dword v4, v[4:5]
	s_and_b64 vcc, exec, s[0:1]
	v_mov_b32_e32 v5, s3
	s_cbranch_vccz .LBB77_5
	s_branch .LBB77_6
	.section	.rodata,"a",@progbits
	.p2align	6, 0x0
	.amdhsa_kernel _ZN9rocsparseL22bsrxmvn_general_kernelILj1024ELj32E21rocsparse_complex_numIfElifS2_S2_EEv20rocsparse_direction_NS_24const_host_device_scalarIT1_EET3_PKS7_PKT2_SC_S9_PKT4_S7_PKT5_S6_PT6_21rocsparse_index_base_b
		.amdhsa_group_segment_fixed_size 0
		.amdhsa_private_segment_fixed_size 0
		.amdhsa_kernarg_size 104
		.amdhsa_user_sgpr_count 6
		.amdhsa_user_sgpr_private_segment_buffer 1
		.amdhsa_user_sgpr_dispatch_ptr 0
		.amdhsa_user_sgpr_queue_ptr 0
		.amdhsa_user_sgpr_kernarg_segment_ptr 1
		.amdhsa_user_sgpr_dispatch_id 0
		.amdhsa_user_sgpr_flat_scratch_init 0
		.amdhsa_user_sgpr_kernarg_preload_length 0
		.amdhsa_user_sgpr_kernarg_preload_offset 0
		.amdhsa_user_sgpr_private_segment_size 0
		.amdhsa_uses_dynamic_stack 0
		.amdhsa_system_sgpr_private_segment_wavefront_offset 0
		.amdhsa_system_sgpr_workgroup_id_x 1
		.amdhsa_system_sgpr_workgroup_id_y 0
		.amdhsa_system_sgpr_workgroup_id_z 0
		.amdhsa_system_sgpr_workgroup_info 0
		.amdhsa_system_vgpr_workitem_id 0
		.amdhsa_next_free_vgpr 29
		.amdhsa_next_free_sgpr 43
		.amdhsa_accum_offset 32
		.amdhsa_reserve_vcc 1
		.amdhsa_reserve_flat_scratch 0
		.amdhsa_float_round_mode_32 0
		.amdhsa_float_round_mode_16_64 0
		.amdhsa_float_denorm_mode_32 3
		.amdhsa_float_denorm_mode_16_64 3
		.amdhsa_dx10_clamp 1
		.amdhsa_ieee_mode 1
		.amdhsa_fp16_overflow 0
		.amdhsa_tg_split 0
		.amdhsa_exception_fp_ieee_invalid_op 0
		.amdhsa_exception_fp_denorm_src 0
		.amdhsa_exception_fp_ieee_div_zero 0
		.amdhsa_exception_fp_ieee_overflow 0
		.amdhsa_exception_fp_ieee_underflow 0
		.amdhsa_exception_fp_ieee_inexact 0
		.amdhsa_exception_int_div_zero 0
	.end_amdhsa_kernel
	.section	.text._ZN9rocsparseL22bsrxmvn_general_kernelILj1024ELj32E21rocsparse_complex_numIfElifS2_S2_EEv20rocsparse_direction_NS_24const_host_device_scalarIT1_EET3_PKS7_PKT2_SC_S9_PKT4_S7_PKT5_S6_PT6_21rocsparse_index_base_b,"axG",@progbits,_ZN9rocsparseL22bsrxmvn_general_kernelILj1024ELj32E21rocsparse_complex_numIfElifS2_S2_EEv20rocsparse_direction_NS_24const_host_device_scalarIT1_EET3_PKS7_PKT2_SC_S9_PKT4_S7_PKT5_S6_PT6_21rocsparse_index_base_b,comdat
.Lfunc_end77:
	.size	_ZN9rocsparseL22bsrxmvn_general_kernelILj1024ELj32E21rocsparse_complex_numIfElifS2_S2_EEv20rocsparse_direction_NS_24const_host_device_scalarIT1_EET3_PKS7_PKT2_SC_S9_PKT4_S7_PKT5_S6_PT6_21rocsparse_index_base_b, .Lfunc_end77-_ZN9rocsparseL22bsrxmvn_general_kernelILj1024ELj32E21rocsparse_complex_numIfElifS2_S2_EEv20rocsparse_direction_NS_24const_host_device_scalarIT1_EET3_PKS7_PKT2_SC_S9_PKT4_S7_PKT5_S6_PT6_21rocsparse_index_base_b
                                        ; -- End function
	.section	.AMDGPU.csdata,"",@progbits
; Kernel info:
; codeLenInByte = 1336
; NumSgprs: 47
; NumVgprs: 29
; NumAgprs: 0
; TotalNumVgprs: 29
; ScratchSize: 0
; MemoryBound: 0
; FloatMode: 240
; IeeeMode: 1
; LDSByteSize: 0 bytes/workgroup (compile time only)
; SGPRBlocks: 5
; VGPRBlocks: 3
; NumSGPRsForWavesPerEU: 47
; NumVGPRsForWavesPerEU: 29
; AccumOffset: 32
; Occupancy: 8
; WaveLimiterHint : 1
; COMPUTE_PGM_RSRC2:SCRATCH_EN: 0
; COMPUTE_PGM_RSRC2:USER_SGPR: 6
; COMPUTE_PGM_RSRC2:TRAP_HANDLER: 0
; COMPUTE_PGM_RSRC2:TGID_X_EN: 1
; COMPUTE_PGM_RSRC2:TGID_Y_EN: 0
; COMPUTE_PGM_RSRC2:TGID_Z_EN: 0
; COMPUTE_PGM_RSRC2:TIDIG_COMP_CNT: 0
; COMPUTE_PGM_RSRC3_GFX90A:ACCUM_OFFSET: 7
; COMPUTE_PGM_RSRC3_GFX90A:TG_SPLIT: 0
	.section	.text._ZN9rocsparseL22bsrxmvn_general_kernelILj64ELj8E21rocsparse_complex_numIfEllfS2_S2_EEv20rocsparse_direction_NS_24const_host_device_scalarIT1_EET3_PKS7_PKT2_SC_S9_PKT4_S7_PKT5_S6_PT6_21rocsparse_index_base_b,"axG",@progbits,_ZN9rocsparseL22bsrxmvn_general_kernelILj64ELj8E21rocsparse_complex_numIfEllfS2_S2_EEv20rocsparse_direction_NS_24const_host_device_scalarIT1_EET3_PKS7_PKT2_SC_S9_PKT4_S7_PKT5_S6_PT6_21rocsparse_index_base_b,comdat
	.globl	_ZN9rocsparseL22bsrxmvn_general_kernelILj64ELj8E21rocsparse_complex_numIfEllfS2_S2_EEv20rocsparse_direction_NS_24const_host_device_scalarIT1_EET3_PKS7_PKT2_SC_S9_PKT4_S7_PKT5_S6_PT6_21rocsparse_index_base_b ; -- Begin function _ZN9rocsparseL22bsrxmvn_general_kernelILj64ELj8E21rocsparse_complex_numIfEllfS2_S2_EEv20rocsparse_direction_NS_24const_host_device_scalarIT1_EET3_PKS7_PKT2_SC_S9_PKT4_S7_PKT5_S6_PT6_21rocsparse_index_base_b
	.p2align	8
	.type	_ZN9rocsparseL22bsrxmvn_general_kernelILj64ELj8E21rocsparse_complex_numIfEllfS2_S2_EEv20rocsparse_direction_NS_24const_host_device_scalarIT1_EET3_PKS7_PKT2_SC_S9_PKT4_S7_PKT5_S6_PT6_21rocsparse_index_base_b,@function
_ZN9rocsparseL22bsrxmvn_general_kernelILj64ELj8E21rocsparse_complex_numIfEllfS2_S2_EEv20rocsparse_direction_NS_24const_host_device_scalarIT1_EET3_PKS7_PKT2_SC_S9_PKT4_S7_PKT5_S6_PT6_21rocsparse_index_base_b: ; @_ZN9rocsparseL22bsrxmvn_general_kernelILj64ELj8E21rocsparse_complex_numIfEllfS2_S2_EEv20rocsparse_direction_NS_24const_host_device_scalarIT1_EET3_PKS7_PKT2_SC_S9_PKT4_S7_PKT5_S6_PT6_21rocsparse_index_base_b
; %bb.0:
	s_load_dwordx2 s[16:17], s[4:5], 0x60
	s_load_dwordx2 s[8:9], s[4:5], 0x8
	;; [unrolled: 1-line block ×3, first 2 shown]
	s_waitcnt lgkmcnt(0)
	s_bitcmp1_b32 s17, 0
	s_cselect_b64 s[0:1], -1, 0
	s_xor_b64 s[10:11], s[0:1], -1
	s_and_b64 vcc, exec, s[0:1]
	v_mov_b32_e32 v2, s8
	s_cbranch_vccnz .LBB78_2
; %bb.1:
	v_pk_mov_b32 v[2:3], s[8:9], s[8:9] op_sel:[0,1]
	flat_load_dword v2, v[2:3]
.LBB78_2:
	v_cndmask_b32_e64 v1, 0, 1, s[10:11]
	v_cmp_ne_u32_e64 s[0:1], 1, v1
	s_andn2_b64 vcc, exec, s[10:11]
	v_mov_b32_e32 v3, s9
	s_cbranch_vccz .LBB78_31
; %bb.3:
	s_and_b64 vcc, exec, s[0:1]
	v_mov_b32_e32 v4, s2
	s_cbranch_vccz .LBB78_32
.LBB78_4:
	s_and_b64 vcc, exec, s[0:1]
	v_mov_b32_e32 v5, s3
	s_cbranch_vccnz .LBB78_6
.LBB78_5:
	v_pk_mov_b32 v[6:7], s[2:3], s[2:3] op_sel:[0,1]
	flat_load_dword v5, v[6:7] offset:4
.LBB78_6:
	s_waitcnt vmcnt(0) lgkmcnt(0)
	v_and_b32_e32 v1, 0x7fffffff, v2
	v_cmp_eq_u32_e32 vcc, 0, v1
	v_cmp_eq_f32_e64 s[0:1], 0, v3
	s_and_b64 s[8:9], vcc, s[0:1]
	s_mov_b64 s[0:1], -1
	s_and_saveexec_b64 s[2:3], s[8:9]
; %bb.7:
	v_and_b32_e32 v1, 0x7fffffff, v5
	v_cmp_neq_f32_e32 vcc, 1.0, v4
	v_cmp_ne_u32_e64 s[0:1], 0, v1
	s_or_b64 s[0:1], vcc, s[0:1]
	s_orn2_b64 s[0:1], s[0:1], exec
; %bb.8:
	s_or_b64 exec, exec, s[2:3]
	s_and_saveexec_b64 s[2:3], s[0:1]
	s_cbranch_execz .LBB78_30
; %bb.9:
	s_load_dwordx2 s[0:1], s[4:5], 0x18
	s_mov_b32 s7, 0
	s_waitcnt lgkmcnt(0)
	s_cmp_eq_u64 s[0:1], 0
	s_cbranch_scc1 .LBB78_11
; %bb.10:
	s_lshl_b64 s[2:3], s[6:7], 3
	s_add_u32 s0, s0, s2
	s_addc_u32 s1, s1, s3
	s_load_dwordx2 s[0:1], s[0:1], 0x0
	s_waitcnt lgkmcnt(0)
	s_sub_u32 s6, s0, s16
	s_subb_u32 s7, s1, 0
.LBB78_11:
	s_load_dwordx2 s[18:19], s[4:5], 0x40
	v_lshrrev_b32_e32 v6, 3, v0
	v_mov_b32_e32 v7, 0
	s_waitcnt lgkmcnt(0)
	v_cmp_gt_i64_e32 vcc, s[18:19], v[6:7]
	s_and_b64 exec, exec, vcc
	s_cbranch_execz .LBB78_30
; %bb.12:
	s_load_dwordx8 s[8:15], s[4:5], 0x20
	s_lshl_b64 s[0:1], s[6:7], 3
	v_and_b32_e32 v8, 0x7fffffff, v4
	v_cmp_eq_u32_e32 vcc, 0, v8
	v_and_b32_e32 v0, 7, v0
	s_waitcnt lgkmcnt(0)
	s_add_u32 s2, s8, s0
	s_addc_u32 s3, s9, s1
	s_load_dwordx2 s[28:29], s[2:3], 0x0
	s_load_dwordx2 s[30:31], s[4:5], 0x58
	;; [unrolled: 1-line block ×3, first 2 shown]
	v_lshlrev_b32_e32 v12, 3, v0
	s_load_dword s4, s[4:5], 0x0
	s_waitcnt lgkmcnt(0)
	s_sub_u32 s22, s28, s16
	s_subb_u32 s23, s29, 0
	s_add_u32 s2, s2, 8
	s_addc_u32 s3, s3, 0
	s_add_u32 s0, s10, s0
	s_addc_u32 s1, s11, s1
	s_cmp_eq_u64 s[10:11], 0
	s_cselect_b32 s1, s3, s1
	s_cselect_b32 s0, s2, s0
	s_load_dwordx2 s[24:25], s[0:1], 0x0
	v_mov_b32_e32 v13, s35
	v_mov_b32_e32 v14, s22
	;; [unrolled: 1-line block ×3, first 2 shown]
	s_mov_b64 s[8:9], 0
	s_waitcnt lgkmcnt(0)
	s_sub_u32 s10, s24, s16
	s_subb_u32 s11, s25, 0
	s_cmp_lg_u32 s4, 0
	v_cmp_eq_f32_e64 s[4:5], 0, v5
	v_pk_mov_b32 v[16:17], s[24:25], s[24:25] op_sel:[0,1]
	s_cselect_b64 s[24:25], -1, 0
	s_and_b64 s[26:27], vcc, s[4:5]
	s_mul_i32 s4, s6, s19
	s_mul_hi_u32 s5, s6, s18
	s_add_i32 s4, s5, s4
	s_mul_i32 s5, s7, s18
	s_add_i32 s5, s4, s5
	s_mul_i32 s4, s6, s18
	s_lshl_b64 s[4:5], s[4:5], 3
	s_add_u32 s17, s30, s4
	s_addc_u32 s33, s31, s5
	v_add_co_u32_e32 v12, vcc, s34, v12
	s_mul_i32 s4, s19, s22
	s_mul_i32 s5, s18, s23
	v_addc_co_u32_e32 v13, vcc, 0, v13, vcc
	s_add_i32 s21, s5, s4
	v_mad_u64_u32 v[14:15], s[4:5], s18, v14, v[6:7]
	v_add_co_u32_e32 v12, vcc, 4, v12
	v_add_u32_e32 v15, s21, v15
	v_addc_co_u32_e32 v13, vcc, 0, v13, vcc
	v_mul_lo_u32 v18, s18, v15
	v_mul_lo_u32 v19, s19, v14
	v_mad_u64_u32 v[14:15], s[4:5], s18, v14, 0
	s_mul_i32 s4, s18, s19
	s_mul_hi_u32 s5, s18, s18
	v_cmp_lt_i64_e32 vcc, s[28:29], v[16:17]
	s_add_i32 s5, s5, s4
	v_cndmask_b32_e64 v17, 0, 1, vcc
	s_mov_b32 s20, 0
	v_cmp_gt_u64_e64 s[0:1], s[18:19], v[0:1]
	v_cmp_eq_u32_e64 s[2:3], 7, v0
	v_xor_b32_e32 v8, 0x80000000, v3
	v_xor_b32_e32 v10, 0x80000000, v5
	v_mov_b32_e32 v9, v2
	v_mov_b32_e32 v11, v4
	s_lshl_b64 s[6:7], s[18:19], 3
	v_add3_u32 v15, v15, v18, v19
	s_add_i32 s38, s5, s4
	s_mul_i32 s39, s18, s18
	v_bfrev_b32_e32 v16, 1
	v_cmp_ne_u32_e64 s[4:5], 1, v17
	v_pk_mov_b32 v[18:19], v[6:7], v[6:7] op_sel:[0,1]
	s_branch .LBB78_14
.LBB78_13:                              ;   in Loop: Header=BB78_14 Depth=1
	s_or_b64 exec, exec, s[28:29]
	v_add_co_u32_e32 v18, vcc, 8, v18
	v_addc_co_u32_e32 v19, vcc, 0, v19, vcc
	v_cmp_le_i64_e32 vcc, s[18:19], v[18:19]
	v_mov_b32_e32 v6, s7
	s_or_b64 s[8:9], vcc, s[8:9]
	v_add_co_u32_e32 v14, vcc, s6, v14
	v_addc_co_u32_e32 v15, vcc, v15, v6, vcc
	s_andn2_b64 exec, exec, s[8:9]
	s_cbranch_execz .LBB78_30
.LBB78_14:                              ; =>This Loop Header: Depth=1
                                        ;     Child Loop BB78_18 Depth 2
                                        ;       Child Loop BB78_21 Depth 3
	s_mov_b32 s21, s20
	s_and_b64 vcc, exec, s[4:5]
	v_pk_mov_b32 v[20:21], s[20:21], s[20:21] op_sel:[0,1]
	s_cbranch_vccnz .LBB78_25
; %bb.15:                               ;   in Loop: Header=BB78_14 Depth=1
	v_pk_mov_b32 v[20:21], s[20:21], s[20:21] op_sel:[0,1]
	v_pk_mov_b32 v[22:23], v[14:15], v[14:15] op_sel:[0,1]
	s_mov_b64 s[28:29], s[22:23]
	s_branch .LBB78_18
.LBB78_16:                              ;   in Loop: Header=BB78_18 Depth=2
	s_or_b64 exec, exec, s[34:35]
.LBB78_17:                              ;   in Loop: Header=BB78_18 Depth=2
	s_or_b64 exec, exec, s[30:31]
	s_add_u32 s28, s28, 1
	v_mov_b32_e32 v6, s38
	v_add_co_u32_e32 v22, vcc, s39, v22
	s_addc_u32 s29, s29, 0
	v_addc_co_u32_e32 v23, vcc, v23, v6, vcc
	v_pk_mov_b32 v[24:25], s[10:11], s[10:11] op_sel:[0,1]
	v_cmp_ge_i64_e32 vcc, s[28:29], v[24:25]
	s_cbranch_vccnz .LBB78_25
.LBB78_18:                              ;   Parent Loop BB78_14 Depth=1
                                        ; =>  This Loop Header: Depth=2
                                        ;       Child Loop BB78_21 Depth 3
	s_and_saveexec_b64 s[30:31], s[0:1]
	s_cbranch_execz .LBB78_17
; %bb.19:                               ;   in Loop: Header=BB78_18 Depth=2
	s_lshl_b64 s[34:35], s[28:29], 3
	s_add_u32 s34, s12, s34
	s_addc_u32 s35, s13, s35
	s_load_dwordx2 s[34:35], s[34:35], 0x0
	s_mul_i32 s21, s28, s19
	s_mul_hi_u32 s36, s28, s18
	s_mul_i32 s37, s29, s18
	s_mul_i32 s40, s28, s18
	s_waitcnt lgkmcnt(0)
	s_sub_u32 s34, s34, s16
	s_subb_u32 s35, s35, 0
	s_add_i32 s21, s36, s21
	s_mul_i32 s36, s7, s34
	s_mul_i32 s35, s6, s35
	v_mov_b32_e32 v6, s34
	s_add_i32 s36, s35, s36
	v_mad_u64_u32 v[24:25], s[34:35], s6, v6, v[12:13]
	s_add_i32 s21, s21, s37
	v_add_u32_e32 v25, s36, v25
	s_mov_b64 s[34:35], 0
	v_pk_mov_b32 v[26:27], v[0:1], v[0:1] op_sel:[0,1]
	s_branch .LBB78_21
.LBB78_20:                              ;   in Loop: Header=BB78_21 Depth=3
	v_lshlrev_b64 v[28:29], 2, v[28:29]
	v_mov_b32_e32 v6, s15
	v_add_co_u32_e32 v28, vcc, s14, v28
	v_addc_co_u32_e32 v29, vcc, v6, v29, vcc
	global_load_dwordx2 v[30:31], v[24:25], off offset:-4
	global_load_dword v6, v[28:29], off
	v_add_co_u32_e32 v26, vcc, 8, v26
	v_addc_co_u32_e32 v27, vcc, 0, v27, vcc
	v_cmp_le_i64_e32 vcc, s[18:19], v[26:27]
	s_or_b64 s[34:35], vcc, s[34:35]
	v_add_co_u32_e32 v24, vcc, 64, v24
	v_addc_co_u32_e32 v25, vcc, 0, v25, vcc
	s_waitcnt vmcnt(0)
	v_pk_fma_f32 v[20:21], v[30:31], v[6:7], v[20:21] op_sel_hi:[0,1,1]
	v_mov_b32_e32 v17, v6
	v_pk_fma_f32 v[20:21], v[30:31], v[16:17], v[20:21] op_sel:[1,0,0]
	s_andn2_b64 exec, exec, s[34:35]
	s_cbranch_execz .LBB78_16
.LBB78_21:                              ;   Parent Loop BB78_14 Depth=1
                                        ;     Parent Loop BB78_18 Depth=2
                                        ; =>    This Inner Loop Header: Depth=3
	s_and_b64 vcc, exec, s[24:25]
	s_cbranch_vccz .LBB78_23
; %bb.22:                               ;   in Loop: Header=BB78_21 Depth=3
	v_mov_b32_e32 v6, s21
	v_add_co_u32_e32 v17, vcc, s40, v26
	v_addc_co_u32_e32 v6, vcc, v27, v6, vcc
	v_mul_lo_u32 v30, v17, s19
	v_mul_lo_u32 v6, v6, s18
	v_mad_u64_u32 v[28:29], s[36:37], v17, s18, v[18:19]
	v_add3_u32 v29, v6, v29, v30
	s_cbranch_execnz .LBB78_20
	s_branch .LBB78_24
.LBB78_23:                              ;   in Loop: Header=BB78_21 Depth=3
                                        ; implicit-def: $vgpr28_vgpr29
.LBB78_24:                              ;   in Loop: Header=BB78_21 Depth=3
	v_add_co_u32_e32 v28, vcc, v22, v26
	v_addc_co_u32_e32 v29, vcc, v23, v27, vcc
	s_branch .LBB78_20
.LBB78_25:                              ;   in Loop: Header=BB78_14 Depth=1
	s_nop 0
	v_mov_b32_dpp v6, v20 row_shr:1 row_mask:0xf bank_mask:0xf
	v_add_f32_e32 v6, v20, v6
	v_mov_b32_dpp v20, v21 row_shr:1 row_mask:0xf bank_mask:0xf
	v_add_f32_e32 v20, v21, v20
	;; [unrolled: 2-line block ×4, first 2 shown]
	v_mov_b32_dpp v17, v6 row_shr:4 row_mask:0xf bank_mask:0xe
	s_nop 0
	v_mov_b32_dpp v21, v20 row_shr:4 row_mask:0xf bank_mask:0xe
	s_and_saveexec_b64 s[28:29], s[2:3]
	s_cbranch_execz .LBB78_13
; %bb.26:                               ;   in Loop: Header=BB78_14 Depth=1
	v_add_f32_e32 v6, v6, v17
	v_add_f32_e32 v20, v20, v21
	v_lshlrev_b64 v[22:23], 3, v[18:19]
	s_and_saveexec_b64 s[30:31], s[26:27]
	s_xor_b64 s[30:31], exec, s[30:31]
	s_cbranch_execz .LBB78_28
; %bb.27:                               ;   in Loop: Header=BB78_14 Depth=1
	v_mov_b32_e32 v17, s33
	v_add_co_u32_e32 v22, vcc, s17, v22
	v_pk_mul_f32 v[20:21], v[20:21], v[8:9] op_sel_hi:[0,1]
	v_addc_co_u32_e32 v23, vcc, v17, v23, vcc
	v_pk_fma_f32 v[20:21], v[2:3], v[6:7], v[20:21] op_sel_hi:[1,0,1]
	global_store_dwordx2 v[22:23], v[20:21], off
                                        ; implicit-def: $vgpr22_vgpr23
                                        ; implicit-def: $vgpr20
                                        ; implicit-def: $vgpr6
.LBB78_28:                              ;   in Loop: Header=BB78_14 Depth=1
	s_andn2_saveexec_b64 s[30:31], s[30:31]
	s_cbranch_execz .LBB78_13
; %bb.29:                               ;   in Loop: Header=BB78_14 Depth=1
	v_mov_b32_e32 v17, s33
	v_add_co_u32_e32 v22, vcc, s17, v22
	v_addc_co_u32_e32 v23, vcc, v17, v23, vcc
	global_load_dwordx2 v[24:25], v[22:23], off
	v_pk_mul_f32 v[20:21], v[20:21], v[8:9] op_sel_hi:[0,1]
	v_pk_fma_f32 v[20:21], v[2:3], v[6:7], v[20:21] op_sel_hi:[1,0,1]
	s_waitcnt vmcnt(0)
	v_pk_fma_f32 v[20:21], v[4:5], v[24:25], v[20:21] op_sel_hi:[1,0,1]
	v_pk_fma_f32 v[20:21], v[10:11], v[24:25], v[20:21] op_sel:[0,1,0]
	global_store_dwordx2 v[22:23], v[20:21], off
	s_branch .LBB78_13
.LBB78_30:
	s_endpgm
.LBB78_31:
	v_pk_mov_b32 v[4:5], s[8:9], s[8:9] op_sel:[0,1]
	flat_load_dword v3, v[4:5] offset:4
	s_and_b64 vcc, exec, s[0:1]
	v_mov_b32_e32 v4, s2
	s_cbranch_vccnz .LBB78_4
.LBB78_32:
	v_pk_mov_b32 v[4:5], s[2:3], s[2:3] op_sel:[0,1]
	flat_load_dword v4, v[4:5]
	s_and_b64 vcc, exec, s[0:1]
	v_mov_b32_e32 v5, s3
	s_cbranch_vccz .LBB78_5
	s_branch .LBB78_6
	.section	.rodata,"a",@progbits
	.p2align	6, 0x0
	.amdhsa_kernel _ZN9rocsparseL22bsrxmvn_general_kernelILj64ELj8E21rocsparse_complex_numIfEllfS2_S2_EEv20rocsparse_direction_NS_24const_host_device_scalarIT1_EET3_PKS7_PKT2_SC_S9_PKT4_S7_PKT5_S6_PT6_21rocsparse_index_base_b
		.amdhsa_group_segment_fixed_size 0
		.amdhsa_private_segment_fixed_size 0
		.amdhsa_kernarg_size 104
		.amdhsa_user_sgpr_count 6
		.amdhsa_user_sgpr_private_segment_buffer 1
		.amdhsa_user_sgpr_dispatch_ptr 0
		.amdhsa_user_sgpr_queue_ptr 0
		.amdhsa_user_sgpr_kernarg_segment_ptr 1
		.amdhsa_user_sgpr_dispatch_id 0
		.amdhsa_user_sgpr_flat_scratch_init 0
		.amdhsa_user_sgpr_kernarg_preload_length 0
		.amdhsa_user_sgpr_kernarg_preload_offset 0
		.amdhsa_user_sgpr_private_segment_size 0
		.amdhsa_uses_dynamic_stack 0
		.amdhsa_system_sgpr_private_segment_wavefront_offset 0
		.amdhsa_system_sgpr_workgroup_id_x 1
		.amdhsa_system_sgpr_workgroup_id_y 0
		.amdhsa_system_sgpr_workgroup_id_z 0
		.amdhsa_system_sgpr_workgroup_info 0
		.amdhsa_system_vgpr_workitem_id 0
		.amdhsa_next_free_vgpr 32
		.amdhsa_next_free_sgpr 41
		.amdhsa_accum_offset 32
		.amdhsa_reserve_vcc 1
		.amdhsa_reserve_flat_scratch 0
		.amdhsa_float_round_mode_32 0
		.amdhsa_float_round_mode_16_64 0
		.amdhsa_float_denorm_mode_32 3
		.amdhsa_float_denorm_mode_16_64 3
		.amdhsa_dx10_clamp 1
		.amdhsa_ieee_mode 1
		.amdhsa_fp16_overflow 0
		.amdhsa_tg_split 0
		.amdhsa_exception_fp_ieee_invalid_op 0
		.amdhsa_exception_fp_denorm_src 0
		.amdhsa_exception_fp_ieee_div_zero 0
		.amdhsa_exception_fp_ieee_overflow 0
		.amdhsa_exception_fp_ieee_underflow 0
		.amdhsa_exception_fp_ieee_inexact 0
		.amdhsa_exception_int_div_zero 0
	.end_amdhsa_kernel
	.section	.text._ZN9rocsparseL22bsrxmvn_general_kernelILj64ELj8E21rocsparse_complex_numIfEllfS2_S2_EEv20rocsparse_direction_NS_24const_host_device_scalarIT1_EET3_PKS7_PKT2_SC_S9_PKT4_S7_PKT5_S6_PT6_21rocsparse_index_base_b,"axG",@progbits,_ZN9rocsparseL22bsrxmvn_general_kernelILj64ELj8E21rocsparse_complex_numIfEllfS2_S2_EEv20rocsparse_direction_NS_24const_host_device_scalarIT1_EET3_PKS7_PKT2_SC_S9_PKT4_S7_PKT5_S6_PT6_21rocsparse_index_base_b,comdat
.Lfunc_end78:
	.size	_ZN9rocsparseL22bsrxmvn_general_kernelILj64ELj8E21rocsparse_complex_numIfEllfS2_S2_EEv20rocsparse_direction_NS_24const_host_device_scalarIT1_EET3_PKS7_PKT2_SC_S9_PKT4_S7_PKT5_S6_PT6_21rocsparse_index_base_b, .Lfunc_end78-_ZN9rocsparseL22bsrxmvn_general_kernelILj64ELj8E21rocsparse_complex_numIfEllfS2_S2_EEv20rocsparse_direction_NS_24const_host_device_scalarIT1_EET3_PKS7_PKT2_SC_S9_PKT4_S7_PKT5_S6_PT6_21rocsparse_index_base_b
                                        ; -- End function
	.section	.AMDGPU.csdata,"",@progbits
; Kernel info:
; codeLenInByte = 1376
; NumSgprs: 45
; NumVgprs: 32
; NumAgprs: 0
; TotalNumVgprs: 32
; ScratchSize: 0
; MemoryBound: 0
; FloatMode: 240
; IeeeMode: 1
; LDSByteSize: 0 bytes/workgroup (compile time only)
; SGPRBlocks: 5
; VGPRBlocks: 3
; NumSGPRsForWavesPerEU: 45
; NumVGPRsForWavesPerEU: 32
; AccumOffset: 32
; Occupancy: 8
; WaveLimiterHint : 1
; COMPUTE_PGM_RSRC2:SCRATCH_EN: 0
; COMPUTE_PGM_RSRC2:USER_SGPR: 6
; COMPUTE_PGM_RSRC2:TRAP_HANDLER: 0
; COMPUTE_PGM_RSRC2:TGID_X_EN: 1
; COMPUTE_PGM_RSRC2:TGID_Y_EN: 0
; COMPUTE_PGM_RSRC2:TGID_Z_EN: 0
; COMPUTE_PGM_RSRC2:TIDIG_COMP_CNT: 0
; COMPUTE_PGM_RSRC3_GFX90A:ACCUM_OFFSET: 7
; COMPUTE_PGM_RSRC3_GFX90A:TG_SPLIT: 0
	.section	.text._ZN9rocsparseL22bsrxmvn_general_kernelILj256ELj16E21rocsparse_complex_numIfEllfS2_S2_EEv20rocsparse_direction_NS_24const_host_device_scalarIT1_EET3_PKS7_PKT2_SC_S9_PKT4_S7_PKT5_S6_PT6_21rocsparse_index_base_b,"axG",@progbits,_ZN9rocsparseL22bsrxmvn_general_kernelILj256ELj16E21rocsparse_complex_numIfEllfS2_S2_EEv20rocsparse_direction_NS_24const_host_device_scalarIT1_EET3_PKS7_PKT2_SC_S9_PKT4_S7_PKT5_S6_PT6_21rocsparse_index_base_b,comdat
	.globl	_ZN9rocsparseL22bsrxmvn_general_kernelILj256ELj16E21rocsparse_complex_numIfEllfS2_S2_EEv20rocsparse_direction_NS_24const_host_device_scalarIT1_EET3_PKS7_PKT2_SC_S9_PKT4_S7_PKT5_S6_PT6_21rocsparse_index_base_b ; -- Begin function _ZN9rocsparseL22bsrxmvn_general_kernelILj256ELj16E21rocsparse_complex_numIfEllfS2_S2_EEv20rocsparse_direction_NS_24const_host_device_scalarIT1_EET3_PKS7_PKT2_SC_S9_PKT4_S7_PKT5_S6_PT6_21rocsparse_index_base_b
	.p2align	8
	.type	_ZN9rocsparseL22bsrxmvn_general_kernelILj256ELj16E21rocsparse_complex_numIfEllfS2_S2_EEv20rocsparse_direction_NS_24const_host_device_scalarIT1_EET3_PKS7_PKT2_SC_S9_PKT4_S7_PKT5_S6_PT6_21rocsparse_index_base_b,@function
_ZN9rocsparseL22bsrxmvn_general_kernelILj256ELj16E21rocsparse_complex_numIfEllfS2_S2_EEv20rocsparse_direction_NS_24const_host_device_scalarIT1_EET3_PKS7_PKT2_SC_S9_PKT4_S7_PKT5_S6_PT6_21rocsparse_index_base_b: ; @_ZN9rocsparseL22bsrxmvn_general_kernelILj256ELj16E21rocsparse_complex_numIfEllfS2_S2_EEv20rocsparse_direction_NS_24const_host_device_scalarIT1_EET3_PKS7_PKT2_SC_S9_PKT4_S7_PKT5_S6_PT6_21rocsparse_index_base_b
; %bb.0:
	s_load_dwordx2 s[16:17], s[4:5], 0x60
	s_load_dwordx2 s[8:9], s[4:5], 0x8
	;; [unrolled: 1-line block ×3, first 2 shown]
	s_waitcnt lgkmcnt(0)
	s_bitcmp1_b32 s17, 0
	s_cselect_b64 s[0:1], -1, 0
	s_xor_b64 s[10:11], s[0:1], -1
	s_and_b64 vcc, exec, s[0:1]
	v_mov_b32_e32 v2, s8
	s_cbranch_vccnz .LBB79_2
; %bb.1:
	v_pk_mov_b32 v[2:3], s[8:9], s[8:9] op_sel:[0,1]
	flat_load_dword v2, v[2:3]
.LBB79_2:
	v_cndmask_b32_e64 v1, 0, 1, s[10:11]
	v_cmp_ne_u32_e64 s[0:1], 1, v1
	s_andn2_b64 vcc, exec, s[10:11]
	v_mov_b32_e32 v3, s9
	s_cbranch_vccz .LBB79_31
; %bb.3:
	s_and_b64 vcc, exec, s[0:1]
	v_mov_b32_e32 v4, s2
	s_cbranch_vccz .LBB79_32
.LBB79_4:
	s_and_b64 vcc, exec, s[0:1]
	v_mov_b32_e32 v5, s3
	s_cbranch_vccnz .LBB79_6
.LBB79_5:
	v_pk_mov_b32 v[6:7], s[2:3], s[2:3] op_sel:[0,1]
	flat_load_dword v5, v[6:7] offset:4
.LBB79_6:
	s_waitcnt vmcnt(0) lgkmcnt(0)
	v_and_b32_e32 v1, 0x7fffffff, v2
	v_cmp_eq_u32_e32 vcc, 0, v1
	v_cmp_eq_f32_e64 s[0:1], 0, v3
	s_and_b64 s[8:9], vcc, s[0:1]
	s_mov_b64 s[0:1], -1
	s_and_saveexec_b64 s[2:3], s[8:9]
; %bb.7:
	v_and_b32_e32 v1, 0x7fffffff, v5
	v_cmp_neq_f32_e32 vcc, 1.0, v4
	v_cmp_ne_u32_e64 s[0:1], 0, v1
	s_or_b64 s[0:1], vcc, s[0:1]
	s_orn2_b64 s[0:1], s[0:1], exec
; %bb.8:
	s_or_b64 exec, exec, s[2:3]
	s_and_saveexec_b64 s[2:3], s[0:1]
	s_cbranch_execz .LBB79_30
; %bb.9:
	s_load_dwordx2 s[0:1], s[4:5], 0x18
	s_mov_b32 s7, 0
	s_waitcnt lgkmcnt(0)
	s_cmp_eq_u64 s[0:1], 0
	s_cbranch_scc1 .LBB79_11
; %bb.10:
	s_lshl_b64 s[2:3], s[6:7], 3
	s_add_u32 s0, s0, s2
	s_addc_u32 s1, s1, s3
	s_load_dwordx2 s[0:1], s[0:1], 0x0
	s_waitcnt lgkmcnt(0)
	s_sub_u32 s6, s0, s16
	s_subb_u32 s7, s1, 0
.LBB79_11:
	s_load_dwordx2 s[18:19], s[4:5], 0x40
	v_lshrrev_b32_e32 v6, 4, v0
	v_mov_b32_e32 v7, 0
	s_waitcnt lgkmcnt(0)
	v_cmp_gt_i64_e32 vcc, s[18:19], v[6:7]
	s_and_b64 exec, exec, vcc
	s_cbranch_execz .LBB79_30
; %bb.12:
	s_load_dwordx8 s[8:15], s[4:5], 0x20
	s_lshl_b64 s[0:1], s[6:7], 3
	v_and_b32_e32 v8, 0x7fffffff, v4
	v_cmp_eq_u32_e32 vcc, 0, v8
	v_and_b32_e32 v0, 15, v0
	s_waitcnt lgkmcnt(0)
	s_add_u32 s2, s8, s0
	s_addc_u32 s3, s9, s1
	s_load_dwordx2 s[34:35], s[2:3], 0x0
	s_load_dwordx2 s[28:29], s[4:5], 0x58
	;; [unrolled: 1-line block ×3, first 2 shown]
	v_lshlrev_b32_e32 v12, 3, v0
	s_load_dword s4, s[4:5], 0x0
	s_waitcnt lgkmcnt(0)
	s_sub_u32 s22, s34, s16
	s_subb_u32 s23, s35, 0
	s_add_u32 s2, s2, 8
	s_addc_u32 s3, s3, 0
	s_add_u32 s0, s10, s0
	s_addc_u32 s1, s11, s1
	s_cmp_eq_u64 s[10:11], 0
	s_cselect_b32 s1, s3, s1
	s_cselect_b32 s0, s2, s0
	s_load_dwordx2 s[24:25], s[0:1], 0x0
	v_mov_b32_e32 v13, s31
	v_mov_b32_e32 v14, s22
	;; [unrolled: 1-line block ×3, first 2 shown]
	s_mov_b64 s[8:9], 0
	s_waitcnt lgkmcnt(0)
	s_sub_u32 s10, s24, s16
	s_subb_u32 s11, s25, 0
	s_cmp_lg_u32 s4, 0
	v_cmp_eq_f32_e64 s[4:5], 0, v5
	v_pk_mov_b32 v[16:17], s[24:25], s[24:25] op_sel:[0,1]
	s_cselect_b64 s[24:25], -1, 0
	s_and_b64 s[26:27], vcc, s[4:5]
	s_mul_i32 s4, s6, s19
	s_mul_hi_u32 s5, s6, s18
	s_add_i32 s4, s5, s4
	s_mul_i32 s5, s7, s18
	s_add_i32 s5, s4, s5
	s_mul_i32 s4, s6, s18
	s_lshl_b64 s[4:5], s[4:5], 3
	s_add_u32 s17, s28, s4
	s_addc_u32 s33, s29, s5
	v_add_co_u32_e32 v12, vcc, s30, v12
	s_mul_i32 s4, s19, s22
	s_mul_i32 s5, s18, s23
	v_addc_co_u32_e32 v13, vcc, 0, v13, vcc
	s_add_i32 s6, s5, s4
	v_mad_u64_u32 v[14:15], s[4:5], s18, v14, v[6:7]
	v_add_co_u32_e32 v12, vcc, 4, v12
	v_add_u32_e32 v15, s6, v15
	v_addc_co_u32_e32 v13, vcc, 0, v13, vcc
	v_mul_lo_u32 v18, s18, v15
	v_mul_lo_u32 v19, s19, v14
	v_mad_u64_u32 v[14:15], s[4:5], s18, v14, 0
	s_mul_i32 s4, s18, s19
	s_mul_hi_u32 s5, s18, s18
	v_cmp_lt_i64_e32 vcc, s[34:35], v[16:17]
	s_add_i32 s5, s5, s4
	v_cndmask_b32_e64 v17, 0, 1, vcc
	s_mov_b32 s20, 0
	v_cmp_gt_u64_e64 s[0:1], s[18:19], v[0:1]
	v_cmp_eq_u32_e64 s[2:3], 15, v0
	v_xor_b32_e32 v8, 0x80000000, v3
	v_xor_b32_e32 v10, 0x80000000, v5
	v_mov_b32_e32 v9, v2
	v_mov_b32_e32 v11, v4
	s_lshl_b64 s[28:29], s[18:19], 3
	v_add3_u32 v15, v15, v18, v19
	s_lshl_b64 s[30:31], s[18:19], 4
	s_add_i32 s40, s5, s4
	s_mul_i32 s41, s18, s18
	v_bfrev_b32_e32 v16, 1
	v_cmp_ne_u32_e64 s[4:5], 1, v17
	v_pk_mov_b32 v[18:19], v[6:7], v[6:7] op_sel:[0,1]
	s_branch .LBB79_14
.LBB79_13:                              ;   in Loop: Header=BB79_14 Depth=1
	s_or_b64 exec, exec, s[6:7]
	v_add_co_u32_e32 v18, vcc, 16, v18
	v_addc_co_u32_e32 v19, vcc, 0, v19, vcc
	v_cmp_le_i64_e32 vcc, s[18:19], v[18:19]
	v_mov_b32_e32 v6, s31
	s_or_b64 s[8:9], vcc, s[8:9]
	v_add_co_u32_e32 v14, vcc, s30, v14
	v_addc_co_u32_e32 v15, vcc, v15, v6, vcc
	s_andn2_b64 exec, exec, s[8:9]
	s_cbranch_execz .LBB79_30
.LBB79_14:                              ; =>This Loop Header: Depth=1
                                        ;     Child Loop BB79_18 Depth 2
                                        ;       Child Loop BB79_21 Depth 3
	s_mov_b32 s21, s20
	s_and_b64 vcc, exec, s[4:5]
	v_pk_mov_b32 v[20:21], s[20:21], s[20:21] op_sel:[0,1]
	s_cbranch_vccnz .LBB79_25
; %bb.15:                               ;   in Loop: Header=BB79_14 Depth=1
	v_pk_mov_b32 v[20:21], s[20:21], s[20:21] op_sel:[0,1]
	v_pk_mov_b32 v[22:23], v[14:15], v[14:15] op_sel:[0,1]
	s_mov_b64 s[34:35], s[22:23]
	s_branch .LBB79_18
.LBB79_16:                              ;   in Loop: Header=BB79_18 Depth=2
	s_or_b64 exec, exec, s[38:39]
.LBB79_17:                              ;   in Loop: Header=BB79_18 Depth=2
	s_or_b64 exec, exec, s[36:37]
	s_add_u32 s34, s34, 1
	v_mov_b32_e32 v6, s40
	v_add_co_u32_e32 v22, vcc, s41, v22
	s_addc_u32 s35, s35, 0
	v_addc_co_u32_e32 v23, vcc, v23, v6, vcc
	v_pk_mov_b32 v[24:25], s[10:11], s[10:11] op_sel:[0,1]
	v_cmp_ge_i64_e32 vcc, s[34:35], v[24:25]
	s_cbranch_vccnz .LBB79_25
.LBB79_18:                              ;   Parent Loop BB79_14 Depth=1
                                        ; =>  This Loop Header: Depth=2
                                        ;       Child Loop BB79_21 Depth 3
	s_and_saveexec_b64 s[36:37], s[0:1]
	s_cbranch_execz .LBB79_17
; %bb.19:                               ;   in Loop: Header=BB79_18 Depth=2
	s_lshl_b64 s[6:7], s[34:35], 3
	s_add_u32 s6, s12, s6
	s_addc_u32 s7, s13, s7
	s_load_dwordx2 s[6:7], s[6:7], 0x0
	s_mul_i32 s21, s34, s19
	s_mul_hi_u32 s38, s34, s18
	s_mul_i32 s39, s35, s18
	s_mul_i32 s42, s34, s18
	s_waitcnt lgkmcnt(0)
	s_sub_u32 s6, s6, s16
	s_subb_u32 s7, s7, 0
	s_add_i32 s21, s38, s21
	s_mul_i32 s38, s29, s6
	s_mul_i32 s7, s28, s7
	v_mov_b32_e32 v6, s6
	s_add_i32 s38, s7, s38
	v_mad_u64_u32 v[24:25], s[6:7], s28, v6, v[12:13]
	s_add_i32 s21, s21, s39
	v_add_u32_e32 v25, s38, v25
	s_mov_b64 s[38:39], 0
	v_pk_mov_b32 v[26:27], v[0:1], v[0:1] op_sel:[0,1]
	s_branch .LBB79_21
.LBB79_20:                              ;   in Loop: Header=BB79_21 Depth=3
	v_lshlrev_b64 v[28:29], 2, v[28:29]
	v_mov_b32_e32 v6, s15
	v_add_co_u32_e32 v28, vcc, s14, v28
	v_addc_co_u32_e32 v29, vcc, v6, v29, vcc
	global_load_dwordx2 v[30:31], v[24:25], off offset:-4
	global_load_dword v6, v[28:29], off
	v_add_co_u32_e32 v26, vcc, 16, v26
	v_addc_co_u32_e32 v27, vcc, 0, v27, vcc
	v_add_co_u32_e32 v24, vcc, 0x80, v24
	v_cmp_le_i64_e64 s[6:7], s[18:19], v[26:27]
	s_or_b64 s[38:39], s[6:7], s[38:39]
	v_addc_co_u32_e32 v25, vcc, 0, v25, vcc
	s_waitcnt vmcnt(0)
	v_pk_fma_f32 v[20:21], v[30:31], v[6:7], v[20:21] op_sel_hi:[0,1,1]
	v_mov_b32_e32 v17, v6
	v_pk_fma_f32 v[20:21], v[30:31], v[16:17], v[20:21] op_sel:[1,0,0]
	s_andn2_b64 exec, exec, s[38:39]
	s_cbranch_execz .LBB79_16
.LBB79_21:                              ;   Parent Loop BB79_14 Depth=1
                                        ;     Parent Loop BB79_18 Depth=2
                                        ; =>    This Inner Loop Header: Depth=3
	s_and_b64 vcc, exec, s[24:25]
	s_cbranch_vccz .LBB79_23
; %bb.22:                               ;   in Loop: Header=BB79_21 Depth=3
	v_mov_b32_e32 v6, s21
	v_add_co_u32_e32 v17, vcc, s42, v26
	v_addc_co_u32_e32 v6, vcc, v27, v6, vcc
	v_mul_lo_u32 v30, v17, s19
	v_mul_lo_u32 v6, v6, s18
	v_mad_u64_u32 v[28:29], s[6:7], v17, s18, v[18:19]
	v_add3_u32 v29, v6, v29, v30
	s_cbranch_execnz .LBB79_20
	s_branch .LBB79_24
.LBB79_23:                              ;   in Loop: Header=BB79_21 Depth=3
                                        ; implicit-def: $vgpr28_vgpr29
.LBB79_24:                              ;   in Loop: Header=BB79_21 Depth=3
	v_add_co_u32_e32 v28, vcc, v22, v26
	v_addc_co_u32_e32 v29, vcc, v23, v27, vcc
	s_branch .LBB79_20
.LBB79_25:                              ;   in Loop: Header=BB79_14 Depth=1
	s_nop 0
	v_mov_b32_dpp v6, v20 row_shr:1 row_mask:0xf bank_mask:0xf
	v_add_f32_e32 v6, v20, v6
	v_mov_b32_dpp v20, v21 row_shr:1 row_mask:0xf bank_mask:0xf
	v_add_f32_e32 v20, v21, v20
	;; [unrolled: 2-line block ×6, first 2 shown]
	v_mov_b32_dpp v17, v6 row_shr:8 row_mask:0xf bank_mask:0xc
	s_nop 0
	v_mov_b32_dpp v21, v20 row_shr:8 row_mask:0xf bank_mask:0xc
	s_and_saveexec_b64 s[6:7], s[2:3]
	s_cbranch_execz .LBB79_13
; %bb.26:                               ;   in Loop: Header=BB79_14 Depth=1
	v_add_f32_e32 v6, v6, v17
	v_add_f32_e32 v20, v20, v21
	v_lshlrev_b64 v[22:23], 3, v[18:19]
	s_and_saveexec_b64 s[34:35], s[26:27]
	s_xor_b64 s[34:35], exec, s[34:35]
	s_cbranch_execz .LBB79_28
; %bb.27:                               ;   in Loop: Header=BB79_14 Depth=1
	v_mov_b32_e32 v17, s33
	v_add_co_u32_e32 v22, vcc, s17, v22
	v_pk_mul_f32 v[20:21], v[20:21], v[8:9] op_sel_hi:[0,1]
	v_addc_co_u32_e32 v23, vcc, v17, v23, vcc
	v_pk_fma_f32 v[20:21], v[2:3], v[6:7], v[20:21] op_sel_hi:[1,0,1]
	global_store_dwordx2 v[22:23], v[20:21], off
                                        ; implicit-def: $vgpr22_vgpr23
                                        ; implicit-def: $vgpr20
                                        ; implicit-def: $vgpr6
.LBB79_28:                              ;   in Loop: Header=BB79_14 Depth=1
	s_andn2_saveexec_b64 s[34:35], s[34:35]
	s_cbranch_execz .LBB79_13
; %bb.29:                               ;   in Loop: Header=BB79_14 Depth=1
	v_mov_b32_e32 v17, s33
	v_add_co_u32_e32 v22, vcc, s17, v22
	v_addc_co_u32_e32 v23, vcc, v17, v23, vcc
	global_load_dwordx2 v[24:25], v[22:23], off
	v_pk_mul_f32 v[20:21], v[20:21], v[8:9] op_sel_hi:[0,1]
	v_pk_fma_f32 v[20:21], v[2:3], v[6:7], v[20:21] op_sel_hi:[1,0,1]
	s_waitcnt vmcnt(0)
	v_pk_fma_f32 v[20:21], v[4:5], v[24:25], v[20:21] op_sel_hi:[1,0,1]
	v_pk_fma_f32 v[20:21], v[10:11], v[24:25], v[20:21] op_sel:[0,1,0]
	global_store_dwordx2 v[22:23], v[20:21], off
	s_branch .LBB79_13
.LBB79_30:
	s_endpgm
.LBB79_31:
	v_pk_mov_b32 v[4:5], s[8:9], s[8:9] op_sel:[0,1]
	flat_load_dword v3, v[4:5] offset:4
	s_and_b64 vcc, exec, s[0:1]
	v_mov_b32_e32 v4, s2
	s_cbranch_vccnz .LBB79_4
.LBB79_32:
	v_pk_mov_b32 v[4:5], s[2:3], s[2:3] op_sel:[0,1]
	flat_load_dword v4, v[4:5]
	s_and_b64 vcc, exec, s[0:1]
	v_mov_b32_e32 v5, s3
	s_cbranch_vccz .LBB79_5
	s_branch .LBB79_6
	.section	.rodata,"a",@progbits
	.p2align	6, 0x0
	.amdhsa_kernel _ZN9rocsparseL22bsrxmvn_general_kernelILj256ELj16E21rocsparse_complex_numIfEllfS2_S2_EEv20rocsparse_direction_NS_24const_host_device_scalarIT1_EET3_PKS7_PKT2_SC_S9_PKT4_S7_PKT5_S6_PT6_21rocsparse_index_base_b
		.amdhsa_group_segment_fixed_size 0
		.amdhsa_private_segment_fixed_size 0
		.amdhsa_kernarg_size 104
		.amdhsa_user_sgpr_count 6
		.amdhsa_user_sgpr_private_segment_buffer 1
		.amdhsa_user_sgpr_dispatch_ptr 0
		.amdhsa_user_sgpr_queue_ptr 0
		.amdhsa_user_sgpr_kernarg_segment_ptr 1
		.amdhsa_user_sgpr_dispatch_id 0
		.amdhsa_user_sgpr_flat_scratch_init 0
		.amdhsa_user_sgpr_kernarg_preload_length 0
		.amdhsa_user_sgpr_kernarg_preload_offset 0
		.amdhsa_user_sgpr_private_segment_size 0
		.amdhsa_uses_dynamic_stack 0
		.amdhsa_system_sgpr_private_segment_wavefront_offset 0
		.amdhsa_system_sgpr_workgroup_id_x 1
		.amdhsa_system_sgpr_workgroup_id_y 0
		.amdhsa_system_sgpr_workgroup_id_z 0
		.amdhsa_system_sgpr_workgroup_info 0
		.amdhsa_system_vgpr_workitem_id 0
		.amdhsa_next_free_vgpr 32
		.amdhsa_next_free_sgpr 43
		.amdhsa_accum_offset 32
		.amdhsa_reserve_vcc 1
		.amdhsa_reserve_flat_scratch 0
		.amdhsa_float_round_mode_32 0
		.amdhsa_float_round_mode_16_64 0
		.amdhsa_float_denorm_mode_32 3
		.amdhsa_float_denorm_mode_16_64 3
		.amdhsa_dx10_clamp 1
		.amdhsa_ieee_mode 1
		.amdhsa_fp16_overflow 0
		.amdhsa_tg_split 0
		.amdhsa_exception_fp_ieee_invalid_op 0
		.amdhsa_exception_fp_denorm_src 0
		.amdhsa_exception_fp_ieee_div_zero 0
		.amdhsa_exception_fp_ieee_overflow 0
		.amdhsa_exception_fp_ieee_underflow 0
		.amdhsa_exception_fp_ieee_inexact 0
		.amdhsa_exception_int_div_zero 0
	.end_amdhsa_kernel
	.section	.text._ZN9rocsparseL22bsrxmvn_general_kernelILj256ELj16E21rocsparse_complex_numIfEllfS2_S2_EEv20rocsparse_direction_NS_24const_host_device_scalarIT1_EET3_PKS7_PKT2_SC_S9_PKT4_S7_PKT5_S6_PT6_21rocsparse_index_base_b,"axG",@progbits,_ZN9rocsparseL22bsrxmvn_general_kernelILj256ELj16E21rocsparse_complex_numIfEllfS2_S2_EEv20rocsparse_direction_NS_24const_host_device_scalarIT1_EET3_PKS7_PKT2_SC_S9_PKT4_S7_PKT5_S6_PT6_21rocsparse_index_base_b,comdat
.Lfunc_end79:
	.size	_ZN9rocsparseL22bsrxmvn_general_kernelILj256ELj16E21rocsparse_complex_numIfEllfS2_S2_EEv20rocsparse_direction_NS_24const_host_device_scalarIT1_EET3_PKS7_PKT2_SC_S9_PKT4_S7_PKT5_S6_PT6_21rocsparse_index_base_b, .Lfunc_end79-_ZN9rocsparseL22bsrxmvn_general_kernelILj256ELj16E21rocsparse_complex_numIfEllfS2_S2_EEv20rocsparse_direction_NS_24const_host_device_scalarIT1_EET3_PKS7_PKT2_SC_S9_PKT4_S7_PKT5_S6_PT6_21rocsparse_index_base_b
                                        ; -- End function
	.section	.AMDGPU.csdata,"",@progbits
; Kernel info:
; codeLenInByte = 1412
; NumSgprs: 47
; NumVgprs: 32
; NumAgprs: 0
; TotalNumVgprs: 32
; ScratchSize: 0
; MemoryBound: 0
; FloatMode: 240
; IeeeMode: 1
; LDSByteSize: 0 bytes/workgroup (compile time only)
; SGPRBlocks: 5
; VGPRBlocks: 3
; NumSGPRsForWavesPerEU: 47
; NumVGPRsForWavesPerEU: 32
; AccumOffset: 32
; Occupancy: 8
; WaveLimiterHint : 1
; COMPUTE_PGM_RSRC2:SCRATCH_EN: 0
; COMPUTE_PGM_RSRC2:USER_SGPR: 6
; COMPUTE_PGM_RSRC2:TRAP_HANDLER: 0
; COMPUTE_PGM_RSRC2:TGID_X_EN: 1
; COMPUTE_PGM_RSRC2:TGID_Y_EN: 0
; COMPUTE_PGM_RSRC2:TGID_Z_EN: 0
; COMPUTE_PGM_RSRC2:TIDIG_COMP_CNT: 0
; COMPUTE_PGM_RSRC3_GFX90A:ACCUM_OFFSET: 7
; COMPUTE_PGM_RSRC3_GFX90A:TG_SPLIT: 0
	.section	.text._ZN9rocsparseL22bsrxmvn_general_kernelILj1024ELj32E21rocsparse_complex_numIfEllfS2_S2_EEv20rocsparse_direction_NS_24const_host_device_scalarIT1_EET3_PKS7_PKT2_SC_S9_PKT4_S7_PKT5_S6_PT6_21rocsparse_index_base_b,"axG",@progbits,_ZN9rocsparseL22bsrxmvn_general_kernelILj1024ELj32E21rocsparse_complex_numIfEllfS2_S2_EEv20rocsparse_direction_NS_24const_host_device_scalarIT1_EET3_PKS7_PKT2_SC_S9_PKT4_S7_PKT5_S6_PT6_21rocsparse_index_base_b,comdat
	.globl	_ZN9rocsparseL22bsrxmvn_general_kernelILj1024ELj32E21rocsparse_complex_numIfEllfS2_S2_EEv20rocsparse_direction_NS_24const_host_device_scalarIT1_EET3_PKS7_PKT2_SC_S9_PKT4_S7_PKT5_S6_PT6_21rocsparse_index_base_b ; -- Begin function _ZN9rocsparseL22bsrxmvn_general_kernelILj1024ELj32E21rocsparse_complex_numIfEllfS2_S2_EEv20rocsparse_direction_NS_24const_host_device_scalarIT1_EET3_PKS7_PKT2_SC_S9_PKT4_S7_PKT5_S6_PT6_21rocsparse_index_base_b
	.p2align	8
	.type	_ZN9rocsparseL22bsrxmvn_general_kernelILj1024ELj32E21rocsparse_complex_numIfEllfS2_S2_EEv20rocsparse_direction_NS_24const_host_device_scalarIT1_EET3_PKS7_PKT2_SC_S9_PKT4_S7_PKT5_S6_PT6_21rocsparse_index_base_b,@function
_ZN9rocsparseL22bsrxmvn_general_kernelILj1024ELj32E21rocsparse_complex_numIfEllfS2_S2_EEv20rocsparse_direction_NS_24const_host_device_scalarIT1_EET3_PKS7_PKT2_SC_S9_PKT4_S7_PKT5_S6_PT6_21rocsparse_index_base_b: ; @_ZN9rocsparseL22bsrxmvn_general_kernelILj1024ELj32E21rocsparse_complex_numIfEllfS2_S2_EEv20rocsparse_direction_NS_24const_host_device_scalarIT1_EET3_PKS7_PKT2_SC_S9_PKT4_S7_PKT5_S6_PT6_21rocsparse_index_base_b
; %bb.0:
	s_load_dwordx2 s[16:17], s[4:5], 0x60
	s_load_dwordx2 s[8:9], s[4:5], 0x8
	s_load_dwordx2 s[2:3], s[4:5], 0x50
	s_waitcnt lgkmcnt(0)
	s_bitcmp1_b32 s17, 0
	s_cselect_b64 s[0:1], -1, 0
	s_xor_b64 s[10:11], s[0:1], -1
	s_and_b64 vcc, exec, s[0:1]
	v_mov_b32_e32 v2, s8
	s_cbranch_vccnz .LBB80_2
; %bb.1:
	v_pk_mov_b32 v[2:3], s[8:9], s[8:9] op_sel:[0,1]
	flat_load_dword v2, v[2:3]
.LBB80_2:
	v_cndmask_b32_e64 v1, 0, 1, s[10:11]
	v_cmp_ne_u32_e64 s[0:1], 1, v1
	s_andn2_b64 vcc, exec, s[10:11]
	v_mov_b32_e32 v3, s9
	s_cbranch_vccz .LBB80_31
; %bb.3:
	s_and_b64 vcc, exec, s[0:1]
	v_mov_b32_e32 v4, s2
	s_cbranch_vccz .LBB80_32
.LBB80_4:
	s_and_b64 vcc, exec, s[0:1]
	v_mov_b32_e32 v5, s3
	s_cbranch_vccnz .LBB80_6
.LBB80_5:
	v_pk_mov_b32 v[6:7], s[2:3], s[2:3] op_sel:[0,1]
	flat_load_dword v5, v[6:7] offset:4
.LBB80_6:
	s_waitcnt vmcnt(0) lgkmcnt(0)
	v_and_b32_e32 v1, 0x7fffffff, v2
	v_cmp_eq_u32_e32 vcc, 0, v1
	v_cmp_eq_f32_e64 s[0:1], 0, v3
	s_and_b64 s[8:9], vcc, s[0:1]
	s_mov_b64 s[0:1], -1
	s_and_saveexec_b64 s[2:3], s[8:9]
; %bb.7:
	v_and_b32_e32 v1, 0x7fffffff, v5
	v_cmp_neq_f32_e32 vcc, 1.0, v4
	v_cmp_ne_u32_e64 s[0:1], 0, v1
	s_or_b64 s[0:1], vcc, s[0:1]
	s_orn2_b64 s[0:1], s[0:1], exec
; %bb.8:
	s_or_b64 exec, exec, s[2:3]
	s_and_saveexec_b64 s[2:3], s[0:1]
	s_cbranch_execz .LBB80_30
; %bb.9:
	s_load_dwordx2 s[0:1], s[4:5], 0x18
	s_mov_b32 s7, 0
	s_waitcnt lgkmcnt(0)
	s_cmp_eq_u64 s[0:1], 0
	s_cbranch_scc1 .LBB80_11
; %bb.10:
	s_lshl_b64 s[2:3], s[6:7], 3
	s_add_u32 s0, s0, s2
	s_addc_u32 s1, s1, s3
	s_load_dwordx2 s[0:1], s[0:1], 0x0
	s_waitcnt lgkmcnt(0)
	s_sub_u32 s6, s0, s16
	s_subb_u32 s7, s1, 0
.LBB80_11:
	s_load_dwordx2 s[18:19], s[4:5], 0x40
	v_lshrrev_b32_e32 v6, 5, v0
	v_mov_b32_e32 v7, 0
	s_waitcnt lgkmcnt(0)
	v_cmp_gt_i64_e32 vcc, s[18:19], v[6:7]
	s_and_b64 exec, exec, vcc
	s_cbranch_execz .LBB80_30
; %bb.12:
	s_load_dwordx8 s[8:15], s[4:5], 0x20
	s_lshl_b64 s[0:1], s[6:7], 3
	v_and_b32_e32 v8, 0x7fffffff, v4
	v_cmp_eq_u32_e32 vcc, 0, v8
	v_and_b32_e32 v0, 31, v0
	s_waitcnt lgkmcnt(0)
	s_add_u32 s2, s8, s0
	s_addc_u32 s3, s9, s1
	s_load_dwordx2 s[34:35], s[2:3], 0x0
	s_load_dwordx2 s[28:29], s[4:5], 0x58
	;; [unrolled: 1-line block ×3, first 2 shown]
	v_lshlrev_b32_e32 v12, 3, v0
	s_load_dword s4, s[4:5], 0x0
	s_waitcnt lgkmcnt(0)
	s_sub_u32 s22, s34, s16
	s_subb_u32 s23, s35, 0
	s_add_u32 s2, s2, 8
	s_addc_u32 s3, s3, 0
	s_add_u32 s0, s10, s0
	s_addc_u32 s1, s11, s1
	s_cmp_eq_u64 s[10:11], 0
	s_cselect_b32 s1, s3, s1
	s_cselect_b32 s0, s2, s0
	s_load_dwordx2 s[24:25], s[0:1], 0x0
	v_mov_b32_e32 v13, s31
	v_mov_b32_e32 v14, s22
	;; [unrolled: 1-line block ×3, first 2 shown]
	s_mov_b64 s[8:9], 0
	s_waitcnt lgkmcnt(0)
	s_sub_u32 s10, s24, s16
	s_subb_u32 s11, s25, 0
	s_cmp_lg_u32 s4, 0
	v_cmp_eq_f32_e64 s[4:5], 0, v5
	v_pk_mov_b32 v[16:17], s[24:25], s[24:25] op_sel:[0,1]
	s_cselect_b64 s[24:25], -1, 0
	s_and_b64 s[26:27], vcc, s[4:5]
	s_mul_i32 s4, s6, s19
	s_mul_hi_u32 s5, s6, s18
	s_add_i32 s4, s5, s4
	s_mul_i32 s5, s7, s18
	s_add_i32 s5, s4, s5
	s_mul_i32 s4, s6, s18
	s_lshl_b64 s[4:5], s[4:5], 3
	s_add_u32 s17, s28, s4
	s_addc_u32 s33, s29, s5
	v_add_co_u32_e32 v12, vcc, s30, v12
	s_mul_i32 s4, s19, s22
	s_mul_i32 s5, s18, s23
	v_addc_co_u32_e32 v13, vcc, 0, v13, vcc
	s_add_i32 s6, s5, s4
	v_mad_u64_u32 v[14:15], s[4:5], s18, v14, v[6:7]
	v_add_co_u32_e32 v12, vcc, 4, v12
	v_add_u32_e32 v15, s6, v15
	v_addc_co_u32_e32 v13, vcc, 0, v13, vcc
	v_mul_lo_u32 v18, s18, v15
	v_mul_lo_u32 v19, s19, v14
	v_mad_u64_u32 v[14:15], s[4:5], s18, v14, 0
	s_mul_i32 s4, s18, s19
	s_mul_hi_u32 s5, s18, s18
	v_cmp_lt_i64_e32 vcc, s[34:35], v[16:17]
	s_add_i32 s5, s5, s4
	v_cndmask_b32_e64 v17, 0, 1, vcc
	s_mov_b32 s20, 0
	v_cmp_gt_u64_e64 s[0:1], s[18:19], v[0:1]
	v_cmp_eq_u32_e64 s[2:3], 31, v0
	v_xor_b32_e32 v8, 0x80000000, v3
	v_xor_b32_e32 v10, 0x80000000, v5
	v_mov_b32_e32 v9, v2
	v_mov_b32_e32 v11, v4
	s_lshl_b64 s[28:29], s[18:19], 3
	v_add3_u32 v15, v15, v18, v19
	s_lshl_b64 s[30:31], s[18:19], 5
	s_add_i32 s40, s5, s4
	s_mul_i32 s41, s18, s18
	v_bfrev_b32_e32 v16, 1
	v_cmp_ne_u32_e64 s[4:5], 1, v17
	v_pk_mov_b32 v[18:19], v[6:7], v[6:7] op_sel:[0,1]
	s_branch .LBB80_14
.LBB80_13:                              ;   in Loop: Header=BB80_14 Depth=1
	s_or_b64 exec, exec, s[6:7]
	v_add_co_u32_e32 v18, vcc, 32, v18
	v_addc_co_u32_e32 v19, vcc, 0, v19, vcc
	v_cmp_le_i64_e32 vcc, s[18:19], v[18:19]
	v_mov_b32_e32 v6, s31
	s_or_b64 s[8:9], vcc, s[8:9]
	v_add_co_u32_e32 v14, vcc, s30, v14
	v_addc_co_u32_e32 v15, vcc, v15, v6, vcc
	s_andn2_b64 exec, exec, s[8:9]
	s_cbranch_execz .LBB80_30
.LBB80_14:                              ; =>This Loop Header: Depth=1
                                        ;     Child Loop BB80_18 Depth 2
                                        ;       Child Loop BB80_21 Depth 3
	s_mov_b32 s21, s20
	s_and_b64 vcc, exec, s[4:5]
	v_pk_mov_b32 v[20:21], s[20:21], s[20:21] op_sel:[0,1]
	s_cbranch_vccnz .LBB80_25
; %bb.15:                               ;   in Loop: Header=BB80_14 Depth=1
	v_pk_mov_b32 v[20:21], s[20:21], s[20:21] op_sel:[0,1]
	v_pk_mov_b32 v[22:23], v[14:15], v[14:15] op_sel:[0,1]
	s_mov_b64 s[34:35], s[22:23]
	s_branch .LBB80_18
.LBB80_16:                              ;   in Loop: Header=BB80_18 Depth=2
	s_or_b64 exec, exec, s[38:39]
.LBB80_17:                              ;   in Loop: Header=BB80_18 Depth=2
	s_or_b64 exec, exec, s[36:37]
	s_add_u32 s34, s34, 1
	v_mov_b32_e32 v6, s40
	v_add_co_u32_e32 v22, vcc, s41, v22
	s_addc_u32 s35, s35, 0
	v_addc_co_u32_e32 v23, vcc, v23, v6, vcc
	v_pk_mov_b32 v[24:25], s[10:11], s[10:11] op_sel:[0,1]
	v_cmp_ge_i64_e32 vcc, s[34:35], v[24:25]
	s_cbranch_vccnz .LBB80_25
.LBB80_18:                              ;   Parent Loop BB80_14 Depth=1
                                        ; =>  This Loop Header: Depth=2
                                        ;       Child Loop BB80_21 Depth 3
	s_and_saveexec_b64 s[36:37], s[0:1]
	s_cbranch_execz .LBB80_17
; %bb.19:                               ;   in Loop: Header=BB80_18 Depth=2
	s_lshl_b64 s[6:7], s[34:35], 3
	s_add_u32 s6, s12, s6
	s_addc_u32 s7, s13, s7
	s_load_dwordx2 s[6:7], s[6:7], 0x0
	s_mul_i32 s21, s34, s19
	s_mul_hi_u32 s38, s34, s18
	s_mul_i32 s39, s35, s18
	s_mul_i32 s42, s34, s18
	s_waitcnt lgkmcnt(0)
	s_sub_u32 s6, s6, s16
	s_subb_u32 s7, s7, 0
	s_add_i32 s21, s38, s21
	s_mul_i32 s38, s29, s6
	s_mul_i32 s7, s28, s7
	v_mov_b32_e32 v6, s6
	s_add_i32 s38, s7, s38
	v_mad_u64_u32 v[24:25], s[6:7], s28, v6, v[12:13]
	s_add_i32 s21, s21, s39
	v_add_u32_e32 v25, s38, v25
	s_mov_b64 s[38:39], 0
	v_pk_mov_b32 v[26:27], v[0:1], v[0:1] op_sel:[0,1]
	s_branch .LBB80_21
.LBB80_20:                              ;   in Loop: Header=BB80_21 Depth=3
	v_lshlrev_b64 v[28:29], 2, v[28:29]
	v_mov_b32_e32 v6, s15
	v_add_co_u32_e32 v28, vcc, s14, v28
	v_addc_co_u32_e32 v29, vcc, v6, v29, vcc
	global_load_dwordx2 v[30:31], v[24:25], off offset:-4
	global_load_dword v6, v[28:29], off
	v_add_co_u32_e32 v26, vcc, 32, v26
	v_addc_co_u32_e32 v27, vcc, 0, v27, vcc
	v_add_co_u32_e32 v24, vcc, 0x100, v24
	v_cmp_le_i64_e64 s[6:7], s[18:19], v[26:27]
	s_or_b64 s[38:39], s[6:7], s[38:39]
	v_addc_co_u32_e32 v25, vcc, 0, v25, vcc
	s_waitcnt vmcnt(0)
	v_pk_fma_f32 v[20:21], v[30:31], v[6:7], v[20:21] op_sel_hi:[0,1,1]
	v_mov_b32_e32 v17, v6
	v_pk_fma_f32 v[20:21], v[30:31], v[16:17], v[20:21] op_sel:[1,0,0]
	s_andn2_b64 exec, exec, s[38:39]
	s_cbranch_execz .LBB80_16
.LBB80_21:                              ;   Parent Loop BB80_14 Depth=1
                                        ;     Parent Loop BB80_18 Depth=2
                                        ; =>    This Inner Loop Header: Depth=3
	s_and_b64 vcc, exec, s[24:25]
	s_cbranch_vccz .LBB80_23
; %bb.22:                               ;   in Loop: Header=BB80_21 Depth=3
	v_mov_b32_e32 v6, s21
	v_add_co_u32_e32 v17, vcc, s42, v26
	v_addc_co_u32_e32 v6, vcc, v27, v6, vcc
	v_mul_lo_u32 v30, v17, s19
	v_mul_lo_u32 v6, v6, s18
	v_mad_u64_u32 v[28:29], s[6:7], v17, s18, v[18:19]
	v_add3_u32 v29, v6, v29, v30
	s_cbranch_execnz .LBB80_20
	s_branch .LBB80_24
.LBB80_23:                              ;   in Loop: Header=BB80_21 Depth=3
                                        ; implicit-def: $vgpr28_vgpr29
.LBB80_24:                              ;   in Loop: Header=BB80_21 Depth=3
	v_add_co_u32_e32 v28, vcc, v22, v26
	v_addc_co_u32_e32 v29, vcc, v23, v27, vcc
	s_branch .LBB80_20
.LBB80_25:                              ;   in Loop: Header=BB80_14 Depth=1
	s_nop 0
	v_mov_b32_dpp v6, v20 row_shr:1 row_mask:0xf bank_mask:0xf
	v_add_f32_e32 v6, v20, v6
	v_mov_b32_dpp v20, v21 row_shr:1 row_mask:0xf bank_mask:0xf
	v_add_f32_e32 v20, v21, v20
	;; [unrolled: 2-line block ×8, first 2 shown]
	v_mov_b32_dpp v17, v6 row_bcast:15 row_mask:0xa bank_mask:0xf
	s_nop 0
	v_mov_b32_dpp v21, v20 row_bcast:15 row_mask:0xa bank_mask:0xf
	s_and_saveexec_b64 s[6:7], s[2:3]
	s_cbranch_execz .LBB80_13
; %bb.26:                               ;   in Loop: Header=BB80_14 Depth=1
	v_add_f32_e32 v6, v6, v17
	v_add_f32_e32 v20, v20, v21
	v_lshlrev_b64 v[22:23], 3, v[18:19]
	s_and_saveexec_b64 s[34:35], s[26:27]
	s_xor_b64 s[34:35], exec, s[34:35]
	s_cbranch_execz .LBB80_28
; %bb.27:                               ;   in Loop: Header=BB80_14 Depth=1
	v_mov_b32_e32 v17, s33
	v_add_co_u32_e32 v22, vcc, s17, v22
	v_pk_mul_f32 v[20:21], v[20:21], v[8:9] op_sel_hi:[0,1]
	v_addc_co_u32_e32 v23, vcc, v17, v23, vcc
	v_pk_fma_f32 v[20:21], v[2:3], v[6:7], v[20:21] op_sel_hi:[1,0,1]
	global_store_dwordx2 v[22:23], v[20:21], off
                                        ; implicit-def: $vgpr22_vgpr23
                                        ; implicit-def: $vgpr20
                                        ; implicit-def: $vgpr6
.LBB80_28:                              ;   in Loop: Header=BB80_14 Depth=1
	s_andn2_saveexec_b64 s[34:35], s[34:35]
	s_cbranch_execz .LBB80_13
; %bb.29:                               ;   in Loop: Header=BB80_14 Depth=1
	v_mov_b32_e32 v17, s33
	v_add_co_u32_e32 v22, vcc, s17, v22
	v_addc_co_u32_e32 v23, vcc, v17, v23, vcc
	global_load_dwordx2 v[24:25], v[22:23], off
	v_pk_mul_f32 v[20:21], v[20:21], v[8:9] op_sel_hi:[0,1]
	v_pk_fma_f32 v[20:21], v[2:3], v[6:7], v[20:21] op_sel_hi:[1,0,1]
	s_waitcnt vmcnt(0)
	v_pk_fma_f32 v[20:21], v[4:5], v[24:25], v[20:21] op_sel_hi:[1,0,1]
	v_pk_fma_f32 v[20:21], v[10:11], v[24:25], v[20:21] op_sel:[0,1,0]
	global_store_dwordx2 v[22:23], v[20:21], off
	s_branch .LBB80_13
.LBB80_30:
	s_endpgm
.LBB80_31:
	v_pk_mov_b32 v[4:5], s[8:9], s[8:9] op_sel:[0,1]
	flat_load_dword v3, v[4:5] offset:4
	s_and_b64 vcc, exec, s[0:1]
	v_mov_b32_e32 v4, s2
	s_cbranch_vccnz .LBB80_4
.LBB80_32:
	v_pk_mov_b32 v[4:5], s[2:3], s[2:3] op_sel:[0,1]
	flat_load_dword v4, v[4:5]
	s_and_b64 vcc, exec, s[0:1]
	v_mov_b32_e32 v5, s3
	s_cbranch_vccz .LBB80_5
	s_branch .LBB80_6
	.section	.rodata,"a",@progbits
	.p2align	6, 0x0
	.amdhsa_kernel _ZN9rocsparseL22bsrxmvn_general_kernelILj1024ELj32E21rocsparse_complex_numIfEllfS2_S2_EEv20rocsparse_direction_NS_24const_host_device_scalarIT1_EET3_PKS7_PKT2_SC_S9_PKT4_S7_PKT5_S6_PT6_21rocsparse_index_base_b
		.amdhsa_group_segment_fixed_size 0
		.amdhsa_private_segment_fixed_size 0
		.amdhsa_kernarg_size 104
		.amdhsa_user_sgpr_count 6
		.amdhsa_user_sgpr_private_segment_buffer 1
		.amdhsa_user_sgpr_dispatch_ptr 0
		.amdhsa_user_sgpr_queue_ptr 0
		.amdhsa_user_sgpr_kernarg_segment_ptr 1
		.amdhsa_user_sgpr_dispatch_id 0
		.amdhsa_user_sgpr_flat_scratch_init 0
		.amdhsa_user_sgpr_kernarg_preload_length 0
		.amdhsa_user_sgpr_kernarg_preload_offset 0
		.amdhsa_user_sgpr_private_segment_size 0
		.amdhsa_uses_dynamic_stack 0
		.amdhsa_system_sgpr_private_segment_wavefront_offset 0
		.amdhsa_system_sgpr_workgroup_id_x 1
		.amdhsa_system_sgpr_workgroup_id_y 0
		.amdhsa_system_sgpr_workgroup_id_z 0
		.amdhsa_system_sgpr_workgroup_info 0
		.amdhsa_system_vgpr_workitem_id 0
		.amdhsa_next_free_vgpr 32
		.amdhsa_next_free_sgpr 43
		.amdhsa_accum_offset 32
		.amdhsa_reserve_vcc 1
		.amdhsa_reserve_flat_scratch 0
		.amdhsa_float_round_mode_32 0
		.amdhsa_float_round_mode_16_64 0
		.amdhsa_float_denorm_mode_32 3
		.amdhsa_float_denorm_mode_16_64 3
		.amdhsa_dx10_clamp 1
		.amdhsa_ieee_mode 1
		.amdhsa_fp16_overflow 0
		.amdhsa_tg_split 0
		.amdhsa_exception_fp_ieee_invalid_op 0
		.amdhsa_exception_fp_denorm_src 0
		.amdhsa_exception_fp_ieee_div_zero 0
		.amdhsa_exception_fp_ieee_overflow 0
		.amdhsa_exception_fp_ieee_underflow 0
		.amdhsa_exception_fp_ieee_inexact 0
		.amdhsa_exception_int_div_zero 0
	.end_amdhsa_kernel
	.section	.text._ZN9rocsparseL22bsrxmvn_general_kernelILj1024ELj32E21rocsparse_complex_numIfEllfS2_S2_EEv20rocsparse_direction_NS_24const_host_device_scalarIT1_EET3_PKS7_PKT2_SC_S9_PKT4_S7_PKT5_S6_PT6_21rocsparse_index_base_b,"axG",@progbits,_ZN9rocsparseL22bsrxmvn_general_kernelILj1024ELj32E21rocsparse_complex_numIfEllfS2_S2_EEv20rocsparse_direction_NS_24const_host_device_scalarIT1_EET3_PKS7_PKT2_SC_S9_PKT4_S7_PKT5_S6_PT6_21rocsparse_index_base_b,comdat
.Lfunc_end80:
	.size	_ZN9rocsparseL22bsrxmvn_general_kernelILj1024ELj32E21rocsparse_complex_numIfEllfS2_S2_EEv20rocsparse_direction_NS_24const_host_device_scalarIT1_EET3_PKS7_PKT2_SC_S9_PKT4_S7_PKT5_S6_PT6_21rocsparse_index_base_b, .Lfunc_end80-_ZN9rocsparseL22bsrxmvn_general_kernelILj1024ELj32E21rocsparse_complex_numIfEllfS2_S2_EEv20rocsparse_direction_NS_24const_host_device_scalarIT1_EET3_PKS7_PKT2_SC_S9_PKT4_S7_PKT5_S6_PT6_21rocsparse_index_base_b
                                        ; -- End function
	.section	.AMDGPU.csdata,"",@progbits
; Kernel info:
; codeLenInByte = 1436
; NumSgprs: 47
; NumVgprs: 32
; NumAgprs: 0
; TotalNumVgprs: 32
; ScratchSize: 0
; MemoryBound: 0
; FloatMode: 240
; IeeeMode: 1
; LDSByteSize: 0 bytes/workgroup (compile time only)
; SGPRBlocks: 5
; VGPRBlocks: 3
; NumSGPRsForWavesPerEU: 47
; NumVGPRsForWavesPerEU: 32
; AccumOffset: 32
; Occupancy: 8
; WaveLimiterHint : 1
; COMPUTE_PGM_RSRC2:SCRATCH_EN: 0
; COMPUTE_PGM_RSRC2:USER_SGPR: 6
; COMPUTE_PGM_RSRC2:TRAP_HANDLER: 0
; COMPUTE_PGM_RSRC2:TGID_X_EN: 1
; COMPUTE_PGM_RSRC2:TGID_Y_EN: 0
; COMPUTE_PGM_RSRC2:TGID_Z_EN: 0
; COMPUTE_PGM_RSRC2:TIDIG_COMP_CNT: 0
; COMPUTE_PGM_RSRC3_GFX90A:ACCUM_OFFSET: 7
; COMPUTE_PGM_RSRC3_GFX90A:TG_SPLIT: 0
	.section	.text._ZN9rocsparseL22bsrxmvn_general_kernelILj64ELj8EdiifddEEv20rocsparse_direction_NS_24const_host_device_scalarIT1_EET3_PKS5_PKT2_SA_S7_PKT4_S5_PKT5_S4_PT6_21rocsparse_index_base_b,"axG",@progbits,_ZN9rocsparseL22bsrxmvn_general_kernelILj64ELj8EdiifddEEv20rocsparse_direction_NS_24const_host_device_scalarIT1_EET3_PKS5_PKT2_SA_S7_PKT4_S5_PKT5_S4_PT6_21rocsparse_index_base_b,comdat
	.globl	_ZN9rocsparseL22bsrxmvn_general_kernelILj64ELj8EdiifddEEv20rocsparse_direction_NS_24const_host_device_scalarIT1_EET3_PKS5_PKT2_SA_S7_PKT4_S5_PKT5_S4_PT6_21rocsparse_index_base_b ; -- Begin function _ZN9rocsparseL22bsrxmvn_general_kernelILj64ELj8EdiifddEEv20rocsparse_direction_NS_24const_host_device_scalarIT1_EET3_PKS5_PKT2_SA_S7_PKT4_S5_PKT5_S4_PT6_21rocsparse_index_base_b
	.p2align	8
	.type	_ZN9rocsparseL22bsrxmvn_general_kernelILj64ELj8EdiifddEEv20rocsparse_direction_NS_24const_host_device_scalarIT1_EET3_PKS5_PKT2_SA_S7_PKT4_S5_PKT5_S4_PT6_21rocsparse_index_base_b,@function
_ZN9rocsparseL22bsrxmvn_general_kernelILj64ELj8EdiifddEEv20rocsparse_direction_NS_24const_host_device_scalarIT1_EET3_PKS5_PKT2_SA_S7_PKT4_S5_PKT5_S4_PT6_21rocsparse_index_base_b: ; @_ZN9rocsparseL22bsrxmvn_general_kernelILj64ELj8EdiifddEEv20rocsparse_direction_NS_24const_host_device_scalarIT1_EET3_PKS5_PKT2_SA_S7_PKT4_S5_PKT5_S4_PT6_21rocsparse_index_base_b
; %bb.0:
	s_load_dwordx2 s[16:17], s[4:5], 0x60
	s_load_dwordx2 s[8:9], s[4:5], 0x8
	;; [unrolled: 1-line block ×3, first 2 shown]
	s_waitcnt lgkmcnt(0)
	s_bitcmp1_b32 s17, 0
	s_cselect_b64 s[10:11], -1, 0
	s_xor_b64 s[2:3], s[10:11], -1
	s_and_b64 vcc, exec, s[10:11]
	v_pk_mov_b32 v[2:3], s[8:9], s[8:9] op_sel:[0,1]
	s_cbranch_vccnz .LBB81_2
; %bb.1:
	v_pk_mov_b32 v[2:3], s[8:9], s[8:9] op_sel:[0,1]
	flat_load_dwordx2 v[2:3], v[2:3]
.LBB81_2:
	s_andn2_b64 vcc, exec, s[2:3]
	v_pk_mov_b32 v[4:5], s[0:1], s[0:1] op_sel:[0,1]
	s_cbranch_vccnz .LBB81_4
; %bb.3:
	v_pk_mov_b32 v[4:5], s[0:1], s[0:1] op_sel:[0,1]
	flat_load_dwordx2 v[4:5], v[4:5]
.LBB81_4:
	s_waitcnt vmcnt(0) lgkmcnt(0)
	v_cmp_neq_f64_e32 vcc, 0, v[2:3]
	v_cmp_neq_f64_e64 s[0:1], 1.0, v[4:5]
	s_or_b64 s[0:1], vcc, s[0:1]
	s_and_saveexec_b64 s[2:3], s[0:1]
	s_cbranch_execz .LBB81_26
; %bb.5:
	s_load_dwordx2 s[0:1], s[4:5], 0x18
	s_waitcnt lgkmcnt(0)
	s_cmp_eq_u64 s[0:1], 0
	s_cbranch_scc1 .LBB81_7
; %bb.6:
	s_ashr_i32 s7, s6, 31
	s_lshl_b64 s[2:3], s[6:7], 2
	s_add_u32 s0, s0, s2
	s_addc_u32 s1, s1, s3
	s_load_dword s0, s[0:1], 0x0
	s_waitcnt lgkmcnt(0)
	s_sub_i32 s6, s0, s16
.LBB81_7:
	s_load_dword s17, s[4:5], 0x40
	v_lshrrev_b32_e32 v6, 3, v0
	s_waitcnt lgkmcnt(0)
	v_cmp_gt_i32_e32 vcc, s17, v6
	s_and_b64 exec, exec, vcc
	s_cbranch_execz .LBB81_26
; %bb.8:
	s_load_dwordx8 s[8:15], s[4:5], 0x20
	s_ashr_i32 s7, s6, 31
	s_lshl_b64 s[0:1], s[6:7], 2
	s_mul_hi_u32 s31, s17, s17
	s_mul_i32 s33, s17, s17
	s_waitcnt lgkmcnt(0)
	s_add_u32 s2, s8, s0
	s_addc_u32 s3, s9, s1
	s_load_dword s7, s[2:3], 0x0
	s_load_dwordx2 s[8:9], s[4:5], 0x58
	s_load_dwordx2 s[18:19], s[4:5], 0x48
	s_mul_i32 s35, s6, s17
	v_and_b32_e32 v0, 7, v0
	s_waitcnt lgkmcnt(0)
	s_sub_i32 s30, s7, s16
	s_add_u32 s2, s2, 4
	s_addc_u32 s3, s3, 0
	s_add_u32 s0, s10, s0
	s_addc_u32 s1, s11, s1
	s_cmp_eq_u64 s[10:11], 0
	s_cselect_b32 s1, s3, s1
	s_cselect_b32 s0, s2, s0
	s_load_dword s2, s[0:1], 0x0
	s_load_dword s3, s[4:5], 0x0
	s_mul_hi_u32 s24, s30, s33
	s_mov_b64 s[20:21], 0
	v_cmp_gt_u32_e64 s[0:1], s17, v0
	s_waitcnt lgkmcnt(0)
	s_sub_i32 s34, s2, s16
	s_cmp_lt_i32 s7, s2
	s_cselect_b64 s[22:23], -1, 0
	s_cmp_lg_u32 s3, 0
	s_cselect_b64 s[10:11], -1, 0
	s_ashr_i32 s6, s30, 31
	s_mul_i32 s7, s30, s31
	s_add_i32 s7, s24, s7
	s_mul_i32 s6, s6, s33
	v_cndmask_b32_e64 v7, 0, 1, s[22:23]
	v_cmp_eq_u32_e64 s[2:3], 7, v0
	v_cmp_eq_f64_e64 s[4:5], 0, v[4:5]
	s_add_i32 s36, s7, s6
	s_mul_i32 s37, s30, s33
	v_mul_lo_u32 v18, s17, v6
	s_lshl_b32 s38, s17, 3
	v_mov_b32_e32 v1, 0
	v_mul_lo_u32 v19, s17, v0
	v_cmp_ne_u32_e64 s[6:7], 1, v7
	s_branch .LBB81_10
.LBB81_9:                               ;   in Loop: Header=BB81_10 Depth=1
	s_or_b64 exec, exec, s[22:23]
	v_add_u32_e32 v6, 8, v6
	v_cmp_le_i32_e32 vcc, s17, v6
	s_or_b64 s[20:21], vcc, s[20:21]
	v_add_u32_e32 v18, s38, v18
	s_andn2_b64 exec, exec, s[20:21]
	s_cbranch_execz .LBB81_26
.LBB81_10:                              ; =>This Loop Header: Depth=1
                                        ;     Child Loop BB81_14 Depth 2
                                        ;       Child Loop BB81_17 Depth 3
	s_and_b64 vcc, exec, s[6:7]
	v_pk_mov_b32 v[8:9], 0, 0
	s_cbranch_vccnz .LBB81_21
; %bb.11:                               ;   in Loop: Header=BB81_10 Depth=1
	v_ashrrev_i32_e32 v7, 31, v18
	v_mov_b32_e32 v8, s36
	v_add_co_u32_e32 v10, vcc, s37, v18
	v_addc_co_u32_e32 v11, vcc, v8, v7, vcc
	v_ashrrev_i32_e32 v7, 31, v6
	v_pk_mov_b32 v[8:9], 0, 0
	s_mov_b32 s22, s30
	s_branch .LBB81_14
.LBB81_12:                              ;   in Loop: Header=BB81_14 Depth=2
	s_or_b64 exec, exec, s[26:27]
.LBB81_13:                              ;   in Loop: Header=BB81_14 Depth=2
	s_or_b64 exec, exec, s[24:25]
	s_add_i32 s22, s22, 1
	v_mov_b32_e32 v12, s31
	v_add_co_u32_e32 v10, vcc, s33, v10
	s_cmp_ge_i32 s22, s34
	v_addc_co_u32_e32 v11, vcc, v11, v12, vcc
	s_cbranch_scc1 .LBB81_21
.LBB81_14:                              ;   Parent Loop BB81_10 Depth=1
                                        ; =>  This Loop Header: Depth=2
                                        ;       Child Loop BB81_17 Depth 3
	s_and_saveexec_b64 s[24:25], s[0:1]
	s_cbranch_execz .LBB81_13
; %bb.15:                               ;   in Loop: Header=BB81_14 Depth=2
	s_ashr_i32 s23, s22, 31
	s_lshl_b64 s[26:27], s[22:23], 2
	s_add_u32 s26, s12, s26
	s_addc_u32 s27, s13, s27
	s_load_dword s26, s[26:27], 0x0
	s_mul_i32 s27, s31, s22
	v_mov_b32_e32 v12, s22
	s_mul_i32 s23, s33, s23
	s_add_i32 s23, s23, s27
	s_waitcnt lgkmcnt(0)
	s_sub_i32 s28, s26, s16
	v_mad_u64_u32 v[12:13], s[26:27], s33, v12, v[6:7]
	v_add_u32_e32 v13, s23, v13
	s_mul_i32 s23, s28, s17
	s_mov_b64 s[26:27], 0
	v_mov_b32_e32 v20, v19
	v_pk_mov_b32 v[14:15], v[0:1], v[0:1] op_sel:[0,1]
	s_branch .LBB81_17
.LBB81_16:                              ;   in Loop: Header=BB81_17 Depth=3
	v_lshlrev_b64 v[16:17], 2, v[16:17]
	v_mov_b32_e32 v21, s15
	v_add_co_u32_e32 v16, vcc, s14, v16
	v_addc_co_u32_e32 v17, vcc, v21, v17, vcc
	global_load_dword v21, v[16:17], off
	v_add_u32_e32 v16, s23, v14
	v_ashrrev_i32_e32 v17, 31, v16
	v_lshlrev_b64 v[16:17], 3, v[16:17]
	v_mov_b32_e32 v22, s19
	v_add_co_u32_e32 v16, vcc, s18, v16
	v_addc_co_u32_e32 v17, vcc, v22, v17, vcc
	global_load_dwordx2 v[16:17], v[16:17], off
	v_add_co_u32_e32 v14, vcc, 8, v14
	v_addc_co_u32_e32 v15, vcc, 0, v15, vcc
	v_cmp_le_i32_e32 vcc, s17, v14
	s_or_b64 s[26:27], vcc, s[26:27]
	v_add_u32_e32 v20, s38, v20
	s_waitcnt vmcnt(1)
	v_cvt_f64_f32_e32 v[22:23], v21
	s_waitcnt vmcnt(0)
	v_fmac_f64_e32 v[8:9], v[22:23], v[16:17]
	s_andn2_b64 exec, exec, s[26:27]
	s_cbranch_execz .LBB81_12
.LBB81_17:                              ;   Parent Loop BB81_10 Depth=1
                                        ;     Parent Loop BB81_14 Depth=2
                                        ; =>    This Inner Loop Header: Depth=3
	s_and_b64 vcc, exec, s[10:11]
	s_cbranch_vccz .LBB81_19
; %bb.18:                               ;   in Loop: Header=BB81_17 Depth=3
	v_ashrrev_i32_e32 v17, 31, v20
	v_add_co_u32_e32 v16, vcc, v12, v20
	v_addc_co_u32_e32 v17, vcc, v13, v17, vcc
	s_cbranch_execnz .LBB81_16
	s_branch .LBB81_20
.LBB81_19:                              ;   in Loop: Header=BB81_17 Depth=3
                                        ; implicit-def: $vgpr16_vgpr17
.LBB81_20:                              ;   in Loop: Header=BB81_17 Depth=3
	v_add_co_u32_e32 v16, vcc, v10, v14
	v_addc_co_u32_e32 v17, vcc, v11, v15, vcc
	s_branch .LBB81_16
.LBB81_21:                              ;   in Loop: Header=BB81_10 Depth=1
	s_nop 0
	v_mov_b32_dpp v10, v8 row_shr:1 row_mask:0xf bank_mask:0xf
	v_mov_b32_dpp v11, v9 row_shr:1 row_mask:0xf bank_mask:0xf
	v_add_f64 v[8:9], v[8:9], v[10:11]
	s_nop 1
	v_mov_b32_dpp v10, v8 row_shr:2 row_mask:0xf bank_mask:0xf
	v_mov_b32_dpp v11, v9 row_shr:2 row_mask:0xf bank_mask:0xf
	v_add_f64 v[8:9], v[8:9], v[10:11]
	s_nop 1
	v_mov_b32_dpp v10, v8 row_shr:4 row_mask:0xf bank_mask:0xe
	v_mov_b32_dpp v11, v9 row_shr:4 row_mask:0xf bank_mask:0xe
	s_and_saveexec_b64 s[22:23], s[2:3]
	s_cbranch_execz .LBB81_9
; %bb.22:                               ;   in Loop: Header=BB81_10 Depth=1
	v_add_f64 v[8:9], v[8:9], v[10:11]
	v_add_u32_e32 v10, s35, v6
	v_mul_f64 v[8:9], v[2:3], v[8:9]
	v_ashrrev_i32_e32 v11, 31, v10
	s_and_saveexec_b64 s[24:25], s[4:5]
	s_xor_b64 s[24:25], exec, s[24:25]
	s_cbranch_execz .LBB81_24
; %bb.23:                               ;   in Loop: Header=BB81_10 Depth=1
	v_lshlrev_b64 v[10:11], 3, v[10:11]
	v_mov_b32_e32 v7, s9
	v_add_co_u32_e32 v10, vcc, s8, v10
	v_addc_co_u32_e32 v11, vcc, v7, v11, vcc
	global_store_dwordx2 v[10:11], v[8:9], off
                                        ; implicit-def: $vgpr10
                                        ; implicit-def: $vgpr8_vgpr9
.LBB81_24:                              ;   in Loop: Header=BB81_10 Depth=1
	s_andn2_saveexec_b64 s[24:25], s[24:25]
	s_cbranch_execz .LBB81_9
; %bb.25:                               ;   in Loop: Header=BB81_10 Depth=1
	v_lshlrev_b64 v[10:11], 3, v[10:11]
	v_mov_b32_e32 v7, s9
	v_add_co_u32_e32 v10, vcc, s8, v10
	v_addc_co_u32_e32 v11, vcc, v7, v11, vcc
	global_load_dwordx2 v[12:13], v[10:11], off
	s_waitcnt vmcnt(0)
	v_fmac_f64_e32 v[8:9], v[4:5], v[12:13]
	global_store_dwordx2 v[10:11], v[8:9], off
	s_branch .LBB81_9
.LBB81_26:
	s_endpgm
	.section	.rodata,"a",@progbits
	.p2align	6, 0x0
	.amdhsa_kernel _ZN9rocsparseL22bsrxmvn_general_kernelILj64ELj8EdiifddEEv20rocsparse_direction_NS_24const_host_device_scalarIT1_EET3_PKS5_PKT2_SA_S7_PKT4_S5_PKT5_S4_PT6_21rocsparse_index_base_b
		.amdhsa_group_segment_fixed_size 0
		.amdhsa_private_segment_fixed_size 0
		.amdhsa_kernarg_size 104
		.amdhsa_user_sgpr_count 6
		.amdhsa_user_sgpr_private_segment_buffer 1
		.amdhsa_user_sgpr_dispatch_ptr 0
		.amdhsa_user_sgpr_queue_ptr 0
		.amdhsa_user_sgpr_kernarg_segment_ptr 1
		.amdhsa_user_sgpr_dispatch_id 0
		.amdhsa_user_sgpr_flat_scratch_init 0
		.amdhsa_user_sgpr_kernarg_preload_length 0
		.amdhsa_user_sgpr_kernarg_preload_offset 0
		.amdhsa_user_sgpr_private_segment_size 0
		.amdhsa_uses_dynamic_stack 0
		.amdhsa_system_sgpr_private_segment_wavefront_offset 0
		.amdhsa_system_sgpr_workgroup_id_x 1
		.amdhsa_system_sgpr_workgroup_id_y 0
		.amdhsa_system_sgpr_workgroup_id_z 0
		.amdhsa_system_sgpr_workgroup_info 0
		.amdhsa_system_vgpr_workitem_id 0
		.amdhsa_next_free_vgpr 24
		.amdhsa_next_free_sgpr 39
		.amdhsa_accum_offset 24
		.amdhsa_reserve_vcc 1
		.amdhsa_reserve_flat_scratch 0
		.amdhsa_float_round_mode_32 0
		.amdhsa_float_round_mode_16_64 0
		.amdhsa_float_denorm_mode_32 3
		.amdhsa_float_denorm_mode_16_64 3
		.amdhsa_dx10_clamp 1
		.amdhsa_ieee_mode 1
		.amdhsa_fp16_overflow 0
		.amdhsa_tg_split 0
		.amdhsa_exception_fp_ieee_invalid_op 0
		.amdhsa_exception_fp_denorm_src 0
		.amdhsa_exception_fp_ieee_div_zero 0
		.amdhsa_exception_fp_ieee_overflow 0
		.amdhsa_exception_fp_ieee_underflow 0
		.amdhsa_exception_fp_ieee_inexact 0
		.amdhsa_exception_int_div_zero 0
	.end_amdhsa_kernel
	.section	.text._ZN9rocsparseL22bsrxmvn_general_kernelILj64ELj8EdiifddEEv20rocsparse_direction_NS_24const_host_device_scalarIT1_EET3_PKS5_PKT2_SA_S7_PKT4_S5_PKT5_S4_PT6_21rocsparse_index_base_b,"axG",@progbits,_ZN9rocsparseL22bsrxmvn_general_kernelILj64ELj8EdiifddEEv20rocsparse_direction_NS_24const_host_device_scalarIT1_EET3_PKS5_PKT2_SA_S7_PKT4_S5_PKT5_S4_PT6_21rocsparse_index_base_b,comdat
.Lfunc_end81:
	.size	_ZN9rocsparseL22bsrxmvn_general_kernelILj64ELj8EdiifddEEv20rocsparse_direction_NS_24const_host_device_scalarIT1_EET3_PKS5_PKT2_SA_S7_PKT4_S5_PKT5_S4_PT6_21rocsparse_index_base_b, .Lfunc_end81-_ZN9rocsparseL22bsrxmvn_general_kernelILj64ELj8EdiifddEEv20rocsparse_direction_NS_24const_host_device_scalarIT1_EET3_PKS5_PKT2_SA_S7_PKT4_S5_PKT5_S4_PT6_21rocsparse_index_base_b
                                        ; -- End function
	.section	.AMDGPU.csdata,"",@progbits
; Kernel info:
; codeLenInByte = 1016
; NumSgprs: 43
; NumVgprs: 24
; NumAgprs: 0
; TotalNumVgprs: 24
; ScratchSize: 0
; MemoryBound: 0
; FloatMode: 240
; IeeeMode: 1
; LDSByteSize: 0 bytes/workgroup (compile time only)
; SGPRBlocks: 5
; VGPRBlocks: 2
; NumSGPRsForWavesPerEU: 43
; NumVGPRsForWavesPerEU: 24
; AccumOffset: 24
; Occupancy: 8
; WaveLimiterHint : 1
; COMPUTE_PGM_RSRC2:SCRATCH_EN: 0
; COMPUTE_PGM_RSRC2:USER_SGPR: 6
; COMPUTE_PGM_RSRC2:TRAP_HANDLER: 0
; COMPUTE_PGM_RSRC2:TGID_X_EN: 1
; COMPUTE_PGM_RSRC2:TGID_Y_EN: 0
; COMPUTE_PGM_RSRC2:TGID_Z_EN: 0
; COMPUTE_PGM_RSRC2:TIDIG_COMP_CNT: 0
; COMPUTE_PGM_RSRC3_GFX90A:ACCUM_OFFSET: 5
; COMPUTE_PGM_RSRC3_GFX90A:TG_SPLIT: 0
	.section	.text._ZN9rocsparseL22bsrxmvn_general_kernelILj256ELj16EdiifddEEv20rocsparse_direction_NS_24const_host_device_scalarIT1_EET3_PKS5_PKT2_SA_S7_PKT4_S5_PKT5_S4_PT6_21rocsparse_index_base_b,"axG",@progbits,_ZN9rocsparseL22bsrxmvn_general_kernelILj256ELj16EdiifddEEv20rocsparse_direction_NS_24const_host_device_scalarIT1_EET3_PKS5_PKT2_SA_S7_PKT4_S5_PKT5_S4_PT6_21rocsparse_index_base_b,comdat
	.globl	_ZN9rocsparseL22bsrxmvn_general_kernelILj256ELj16EdiifddEEv20rocsparse_direction_NS_24const_host_device_scalarIT1_EET3_PKS5_PKT2_SA_S7_PKT4_S5_PKT5_S4_PT6_21rocsparse_index_base_b ; -- Begin function _ZN9rocsparseL22bsrxmvn_general_kernelILj256ELj16EdiifddEEv20rocsparse_direction_NS_24const_host_device_scalarIT1_EET3_PKS5_PKT2_SA_S7_PKT4_S5_PKT5_S4_PT6_21rocsparse_index_base_b
	.p2align	8
	.type	_ZN9rocsparseL22bsrxmvn_general_kernelILj256ELj16EdiifddEEv20rocsparse_direction_NS_24const_host_device_scalarIT1_EET3_PKS5_PKT2_SA_S7_PKT4_S5_PKT5_S4_PT6_21rocsparse_index_base_b,@function
_ZN9rocsparseL22bsrxmvn_general_kernelILj256ELj16EdiifddEEv20rocsparse_direction_NS_24const_host_device_scalarIT1_EET3_PKS5_PKT2_SA_S7_PKT4_S5_PKT5_S4_PT6_21rocsparse_index_base_b: ; @_ZN9rocsparseL22bsrxmvn_general_kernelILj256ELj16EdiifddEEv20rocsparse_direction_NS_24const_host_device_scalarIT1_EET3_PKS5_PKT2_SA_S7_PKT4_S5_PKT5_S4_PT6_21rocsparse_index_base_b
; %bb.0:
	s_load_dwordx2 s[16:17], s[4:5], 0x60
	s_load_dwordx2 s[8:9], s[4:5], 0x8
	;; [unrolled: 1-line block ×3, first 2 shown]
	s_waitcnt lgkmcnt(0)
	s_bitcmp1_b32 s17, 0
	s_cselect_b64 s[10:11], -1, 0
	s_xor_b64 s[2:3], s[10:11], -1
	s_and_b64 vcc, exec, s[10:11]
	v_pk_mov_b32 v[2:3], s[8:9], s[8:9] op_sel:[0,1]
	s_cbranch_vccnz .LBB82_2
; %bb.1:
	v_pk_mov_b32 v[2:3], s[8:9], s[8:9] op_sel:[0,1]
	flat_load_dwordx2 v[2:3], v[2:3]
.LBB82_2:
	s_andn2_b64 vcc, exec, s[2:3]
	v_pk_mov_b32 v[4:5], s[0:1], s[0:1] op_sel:[0,1]
	s_cbranch_vccnz .LBB82_4
; %bb.3:
	v_pk_mov_b32 v[4:5], s[0:1], s[0:1] op_sel:[0,1]
	flat_load_dwordx2 v[4:5], v[4:5]
.LBB82_4:
	s_waitcnt vmcnt(0) lgkmcnt(0)
	v_cmp_neq_f64_e32 vcc, 0, v[2:3]
	v_cmp_neq_f64_e64 s[0:1], 1.0, v[4:5]
	s_or_b64 s[0:1], vcc, s[0:1]
	s_and_saveexec_b64 s[2:3], s[0:1]
	s_cbranch_execz .LBB82_26
; %bb.5:
	s_load_dwordx2 s[0:1], s[4:5], 0x18
	s_waitcnt lgkmcnt(0)
	s_cmp_eq_u64 s[0:1], 0
	s_cbranch_scc1 .LBB82_7
; %bb.6:
	s_ashr_i32 s7, s6, 31
	s_lshl_b64 s[2:3], s[6:7], 2
	s_add_u32 s0, s0, s2
	s_addc_u32 s1, s1, s3
	s_load_dword s0, s[0:1], 0x0
	s_waitcnt lgkmcnt(0)
	s_sub_i32 s6, s0, s16
.LBB82_7:
	s_load_dword s17, s[4:5], 0x40
	v_lshrrev_b32_e32 v6, 4, v0
	s_waitcnt lgkmcnt(0)
	v_cmp_gt_i32_e32 vcc, s17, v6
	s_and_b64 exec, exec, vcc
	s_cbranch_execz .LBB82_26
; %bb.8:
	s_load_dwordx8 s[8:15], s[4:5], 0x20
	s_ashr_i32 s7, s6, 31
	s_lshl_b64 s[0:1], s[6:7], 2
	s_mul_hi_u32 s31, s17, s17
	s_mul_i32 s33, s17, s17
	s_waitcnt lgkmcnt(0)
	s_add_u32 s2, s8, s0
	s_addc_u32 s3, s9, s1
	s_load_dword s7, s[2:3], 0x0
	s_load_dwordx2 s[8:9], s[4:5], 0x58
	s_load_dwordx2 s[18:19], s[4:5], 0x48
	s_mul_i32 s35, s6, s17
	v_and_b32_e32 v0, 15, v0
	s_waitcnt lgkmcnt(0)
	s_sub_i32 s30, s7, s16
	s_add_u32 s2, s2, 4
	s_addc_u32 s3, s3, 0
	s_add_u32 s0, s10, s0
	s_addc_u32 s1, s11, s1
	s_cmp_eq_u64 s[10:11], 0
	s_cselect_b32 s1, s3, s1
	s_cselect_b32 s0, s2, s0
	s_load_dword s2, s[0:1], 0x0
	s_load_dword s3, s[4:5], 0x0
	s_mul_hi_u32 s24, s30, s33
	s_mov_b64 s[20:21], 0
	v_cmp_gt_u32_e64 s[0:1], s17, v0
	s_waitcnt lgkmcnt(0)
	s_sub_i32 s34, s2, s16
	s_cmp_lt_i32 s7, s2
	s_cselect_b64 s[22:23], -1, 0
	s_cmp_lg_u32 s3, 0
	s_cselect_b64 s[10:11], -1, 0
	s_ashr_i32 s6, s30, 31
	s_mul_i32 s7, s30, s31
	s_add_i32 s7, s24, s7
	s_mul_i32 s6, s6, s33
	v_cndmask_b32_e64 v7, 0, 1, s[22:23]
	v_cmp_eq_u32_e64 s[2:3], 15, v0
	v_cmp_eq_f64_e64 s[4:5], 0, v[4:5]
	s_add_i32 s36, s7, s6
	s_mul_i32 s37, s30, s33
	v_mul_lo_u32 v18, s17, v6
	s_lshl_b32 s38, s17, 4
	v_mov_b32_e32 v1, 0
	v_mul_lo_u32 v19, s17, v0
	v_cmp_ne_u32_e64 s[6:7], 1, v7
	s_branch .LBB82_10
.LBB82_9:                               ;   in Loop: Header=BB82_10 Depth=1
	s_or_b64 exec, exec, s[22:23]
	v_add_u32_e32 v6, 16, v6
	v_cmp_le_i32_e32 vcc, s17, v6
	s_or_b64 s[20:21], vcc, s[20:21]
	v_add_u32_e32 v18, s38, v18
	s_andn2_b64 exec, exec, s[20:21]
	s_cbranch_execz .LBB82_26
.LBB82_10:                              ; =>This Loop Header: Depth=1
                                        ;     Child Loop BB82_14 Depth 2
                                        ;       Child Loop BB82_17 Depth 3
	s_and_b64 vcc, exec, s[6:7]
	v_pk_mov_b32 v[8:9], 0, 0
	s_cbranch_vccnz .LBB82_21
; %bb.11:                               ;   in Loop: Header=BB82_10 Depth=1
	v_ashrrev_i32_e32 v7, 31, v18
	v_mov_b32_e32 v8, s36
	v_add_co_u32_e32 v10, vcc, s37, v18
	v_addc_co_u32_e32 v11, vcc, v8, v7, vcc
	v_ashrrev_i32_e32 v7, 31, v6
	v_pk_mov_b32 v[8:9], 0, 0
	s_mov_b32 s22, s30
	s_branch .LBB82_14
.LBB82_12:                              ;   in Loop: Header=BB82_14 Depth=2
	s_or_b64 exec, exec, s[26:27]
.LBB82_13:                              ;   in Loop: Header=BB82_14 Depth=2
	s_or_b64 exec, exec, s[24:25]
	s_add_i32 s22, s22, 1
	v_mov_b32_e32 v12, s31
	v_add_co_u32_e32 v10, vcc, s33, v10
	s_cmp_ge_i32 s22, s34
	v_addc_co_u32_e32 v11, vcc, v11, v12, vcc
	s_cbranch_scc1 .LBB82_21
.LBB82_14:                              ;   Parent Loop BB82_10 Depth=1
                                        ; =>  This Loop Header: Depth=2
                                        ;       Child Loop BB82_17 Depth 3
	s_and_saveexec_b64 s[24:25], s[0:1]
	s_cbranch_execz .LBB82_13
; %bb.15:                               ;   in Loop: Header=BB82_14 Depth=2
	s_ashr_i32 s23, s22, 31
	s_lshl_b64 s[26:27], s[22:23], 2
	s_add_u32 s26, s12, s26
	s_addc_u32 s27, s13, s27
	s_load_dword s26, s[26:27], 0x0
	s_mul_i32 s27, s31, s22
	v_mov_b32_e32 v12, s22
	s_mul_i32 s23, s33, s23
	s_add_i32 s23, s23, s27
	s_waitcnt lgkmcnt(0)
	s_sub_i32 s28, s26, s16
	v_mad_u64_u32 v[12:13], s[26:27], s33, v12, v[6:7]
	v_add_u32_e32 v13, s23, v13
	s_mul_i32 s23, s28, s17
	s_mov_b64 s[26:27], 0
	v_mov_b32_e32 v20, v19
	v_pk_mov_b32 v[14:15], v[0:1], v[0:1] op_sel:[0,1]
	s_branch .LBB82_17
.LBB82_16:                              ;   in Loop: Header=BB82_17 Depth=3
	v_lshlrev_b64 v[16:17], 2, v[16:17]
	v_mov_b32_e32 v21, s15
	v_add_co_u32_e32 v16, vcc, s14, v16
	v_addc_co_u32_e32 v17, vcc, v21, v17, vcc
	global_load_dword v21, v[16:17], off
	v_add_u32_e32 v16, s23, v14
	v_ashrrev_i32_e32 v17, 31, v16
	v_lshlrev_b64 v[16:17], 3, v[16:17]
	v_mov_b32_e32 v22, s19
	v_add_co_u32_e32 v16, vcc, s18, v16
	v_addc_co_u32_e32 v17, vcc, v22, v17, vcc
	global_load_dwordx2 v[16:17], v[16:17], off
	v_add_co_u32_e32 v14, vcc, 16, v14
	v_addc_co_u32_e32 v15, vcc, 0, v15, vcc
	v_cmp_le_i32_e32 vcc, s17, v14
	s_or_b64 s[26:27], vcc, s[26:27]
	v_add_u32_e32 v20, s38, v20
	s_waitcnt vmcnt(1)
	v_cvt_f64_f32_e32 v[22:23], v21
	s_waitcnt vmcnt(0)
	v_fmac_f64_e32 v[8:9], v[22:23], v[16:17]
	s_andn2_b64 exec, exec, s[26:27]
	s_cbranch_execz .LBB82_12
.LBB82_17:                              ;   Parent Loop BB82_10 Depth=1
                                        ;     Parent Loop BB82_14 Depth=2
                                        ; =>    This Inner Loop Header: Depth=3
	s_and_b64 vcc, exec, s[10:11]
	s_cbranch_vccz .LBB82_19
; %bb.18:                               ;   in Loop: Header=BB82_17 Depth=3
	v_ashrrev_i32_e32 v17, 31, v20
	v_add_co_u32_e32 v16, vcc, v12, v20
	v_addc_co_u32_e32 v17, vcc, v13, v17, vcc
	s_cbranch_execnz .LBB82_16
	s_branch .LBB82_20
.LBB82_19:                              ;   in Loop: Header=BB82_17 Depth=3
                                        ; implicit-def: $vgpr16_vgpr17
.LBB82_20:                              ;   in Loop: Header=BB82_17 Depth=3
	v_add_co_u32_e32 v16, vcc, v10, v14
	v_addc_co_u32_e32 v17, vcc, v11, v15, vcc
	s_branch .LBB82_16
.LBB82_21:                              ;   in Loop: Header=BB82_10 Depth=1
	s_nop 0
	v_mov_b32_dpp v10, v8 row_shr:1 row_mask:0xf bank_mask:0xf
	v_mov_b32_dpp v11, v9 row_shr:1 row_mask:0xf bank_mask:0xf
	v_add_f64 v[8:9], v[8:9], v[10:11]
	s_nop 1
	v_mov_b32_dpp v10, v8 row_shr:2 row_mask:0xf bank_mask:0xf
	v_mov_b32_dpp v11, v9 row_shr:2 row_mask:0xf bank_mask:0xf
	v_add_f64 v[8:9], v[8:9], v[10:11]
	;; [unrolled: 4-line block ×3, first 2 shown]
	s_nop 1
	v_mov_b32_dpp v10, v8 row_shr:8 row_mask:0xf bank_mask:0xc
	v_mov_b32_dpp v11, v9 row_shr:8 row_mask:0xf bank_mask:0xc
	s_and_saveexec_b64 s[22:23], s[2:3]
	s_cbranch_execz .LBB82_9
; %bb.22:                               ;   in Loop: Header=BB82_10 Depth=1
	v_add_f64 v[8:9], v[8:9], v[10:11]
	v_add_u32_e32 v10, s35, v6
	v_mul_f64 v[8:9], v[2:3], v[8:9]
	v_ashrrev_i32_e32 v11, 31, v10
	s_and_saveexec_b64 s[24:25], s[4:5]
	s_xor_b64 s[24:25], exec, s[24:25]
	s_cbranch_execz .LBB82_24
; %bb.23:                               ;   in Loop: Header=BB82_10 Depth=1
	v_lshlrev_b64 v[10:11], 3, v[10:11]
	v_mov_b32_e32 v7, s9
	v_add_co_u32_e32 v10, vcc, s8, v10
	v_addc_co_u32_e32 v11, vcc, v7, v11, vcc
	global_store_dwordx2 v[10:11], v[8:9], off
                                        ; implicit-def: $vgpr10
                                        ; implicit-def: $vgpr8_vgpr9
.LBB82_24:                              ;   in Loop: Header=BB82_10 Depth=1
	s_andn2_saveexec_b64 s[24:25], s[24:25]
	s_cbranch_execz .LBB82_9
; %bb.25:                               ;   in Loop: Header=BB82_10 Depth=1
	v_lshlrev_b64 v[10:11], 3, v[10:11]
	v_mov_b32_e32 v7, s9
	v_add_co_u32_e32 v10, vcc, s8, v10
	v_addc_co_u32_e32 v11, vcc, v7, v11, vcc
	global_load_dwordx2 v[12:13], v[10:11], off
	s_waitcnt vmcnt(0)
	v_fmac_f64_e32 v[8:9], v[4:5], v[12:13]
	global_store_dwordx2 v[10:11], v[8:9], off
	s_branch .LBB82_9
.LBB82_26:
	s_endpgm
	.section	.rodata,"a",@progbits
	.p2align	6, 0x0
	.amdhsa_kernel _ZN9rocsparseL22bsrxmvn_general_kernelILj256ELj16EdiifddEEv20rocsparse_direction_NS_24const_host_device_scalarIT1_EET3_PKS5_PKT2_SA_S7_PKT4_S5_PKT5_S4_PT6_21rocsparse_index_base_b
		.amdhsa_group_segment_fixed_size 0
		.amdhsa_private_segment_fixed_size 0
		.amdhsa_kernarg_size 104
		.amdhsa_user_sgpr_count 6
		.amdhsa_user_sgpr_private_segment_buffer 1
		.amdhsa_user_sgpr_dispatch_ptr 0
		.amdhsa_user_sgpr_queue_ptr 0
		.amdhsa_user_sgpr_kernarg_segment_ptr 1
		.amdhsa_user_sgpr_dispatch_id 0
		.amdhsa_user_sgpr_flat_scratch_init 0
		.amdhsa_user_sgpr_kernarg_preload_length 0
		.amdhsa_user_sgpr_kernarg_preload_offset 0
		.amdhsa_user_sgpr_private_segment_size 0
		.amdhsa_uses_dynamic_stack 0
		.amdhsa_system_sgpr_private_segment_wavefront_offset 0
		.amdhsa_system_sgpr_workgroup_id_x 1
		.amdhsa_system_sgpr_workgroup_id_y 0
		.amdhsa_system_sgpr_workgroup_id_z 0
		.amdhsa_system_sgpr_workgroup_info 0
		.amdhsa_system_vgpr_workitem_id 0
		.amdhsa_next_free_vgpr 24
		.amdhsa_next_free_sgpr 39
		.amdhsa_accum_offset 24
		.amdhsa_reserve_vcc 1
		.amdhsa_reserve_flat_scratch 0
		.amdhsa_float_round_mode_32 0
		.amdhsa_float_round_mode_16_64 0
		.amdhsa_float_denorm_mode_32 3
		.amdhsa_float_denorm_mode_16_64 3
		.amdhsa_dx10_clamp 1
		.amdhsa_ieee_mode 1
		.amdhsa_fp16_overflow 0
		.amdhsa_tg_split 0
		.amdhsa_exception_fp_ieee_invalid_op 0
		.amdhsa_exception_fp_denorm_src 0
		.amdhsa_exception_fp_ieee_div_zero 0
		.amdhsa_exception_fp_ieee_overflow 0
		.amdhsa_exception_fp_ieee_underflow 0
		.amdhsa_exception_fp_ieee_inexact 0
		.amdhsa_exception_int_div_zero 0
	.end_amdhsa_kernel
	.section	.text._ZN9rocsparseL22bsrxmvn_general_kernelILj256ELj16EdiifddEEv20rocsparse_direction_NS_24const_host_device_scalarIT1_EET3_PKS5_PKT2_SA_S7_PKT4_S5_PKT5_S4_PT6_21rocsparse_index_base_b,"axG",@progbits,_ZN9rocsparseL22bsrxmvn_general_kernelILj256ELj16EdiifddEEv20rocsparse_direction_NS_24const_host_device_scalarIT1_EET3_PKS5_PKT2_SA_S7_PKT4_S5_PKT5_S4_PT6_21rocsparse_index_base_b,comdat
.Lfunc_end82:
	.size	_ZN9rocsparseL22bsrxmvn_general_kernelILj256ELj16EdiifddEEv20rocsparse_direction_NS_24const_host_device_scalarIT1_EET3_PKS5_PKT2_SA_S7_PKT4_S5_PKT5_S4_PT6_21rocsparse_index_base_b, .Lfunc_end82-_ZN9rocsparseL22bsrxmvn_general_kernelILj256ELj16EdiifddEEv20rocsparse_direction_NS_24const_host_device_scalarIT1_EET3_PKS5_PKT2_SA_S7_PKT4_S5_PKT5_S4_PT6_21rocsparse_index_base_b
                                        ; -- End function
	.section	.AMDGPU.csdata,"",@progbits
; Kernel info:
; codeLenInByte = 1044
; NumSgprs: 43
; NumVgprs: 24
; NumAgprs: 0
; TotalNumVgprs: 24
; ScratchSize: 0
; MemoryBound: 0
; FloatMode: 240
; IeeeMode: 1
; LDSByteSize: 0 bytes/workgroup (compile time only)
; SGPRBlocks: 5
; VGPRBlocks: 2
; NumSGPRsForWavesPerEU: 43
; NumVGPRsForWavesPerEU: 24
; AccumOffset: 24
; Occupancy: 8
; WaveLimiterHint : 1
; COMPUTE_PGM_RSRC2:SCRATCH_EN: 0
; COMPUTE_PGM_RSRC2:USER_SGPR: 6
; COMPUTE_PGM_RSRC2:TRAP_HANDLER: 0
; COMPUTE_PGM_RSRC2:TGID_X_EN: 1
; COMPUTE_PGM_RSRC2:TGID_Y_EN: 0
; COMPUTE_PGM_RSRC2:TGID_Z_EN: 0
; COMPUTE_PGM_RSRC2:TIDIG_COMP_CNT: 0
; COMPUTE_PGM_RSRC3_GFX90A:ACCUM_OFFSET: 5
; COMPUTE_PGM_RSRC3_GFX90A:TG_SPLIT: 0
	.section	.text._ZN9rocsparseL22bsrxmvn_general_kernelILj1024ELj32EdiifddEEv20rocsparse_direction_NS_24const_host_device_scalarIT1_EET3_PKS5_PKT2_SA_S7_PKT4_S5_PKT5_S4_PT6_21rocsparse_index_base_b,"axG",@progbits,_ZN9rocsparseL22bsrxmvn_general_kernelILj1024ELj32EdiifddEEv20rocsparse_direction_NS_24const_host_device_scalarIT1_EET3_PKS5_PKT2_SA_S7_PKT4_S5_PKT5_S4_PT6_21rocsparse_index_base_b,comdat
	.globl	_ZN9rocsparseL22bsrxmvn_general_kernelILj1024ELj32EdiifddEEv20rocsparse_direction_NS_24const_host_device_scalarIT1_EET3_PKS5_PKT2_SA_S7_PKT4_S5_PKT5_S4_PT6_21rocsparse_index_base_b ; -- Begin function _ZN9rocsparseL22bsrxmvn_general_kernelILj1024ELj32EdiifddEEv20rocsparse_direction_NS_24const_host_device_scalarIT1_EET3_PKS5_PKT2_SA_S7_PKT4_S5_PKT5_S4_PT6_21rocsparse_index_base_b
	.p2align	8
	.type	_ZN9rocsparseL22bsrxmvn_general_kernelILj1024ELj32EdiifddEEv20rocsparse_direction_NS_24const_host_device_scalarIT1_EET3_PKS5_PKT2_SA_S7_PKT4_S5_PKT5_S4_PT6_21rocsparse_index_base_b,@function
_ZN9rocsparseL22bsrxmvn_general_kernelILj1024ELj32EdiifddEEv20rocsparse_direction_NS_24const_host_device_scalarIT1_EET3_PKS5_PKT2_SA_S7_PKT4_S5_PKT5_S4_PT6_21rocsparse_index_base_b: ; @_ZN9rocsparseL22bsrxmvn_general_kernelILj1024ELj32EdiifddEEv20rocsparse_direction_NS_24const_host_device_scalarIT1_EET3_PKS5_PKT2_SA_S7_PKT4_S5_PKT5_S4_PT6_21rocsparse_index_base_b
; %bb.0:
	s_load_dwordx2 s[16:17], s[4:5], 0x60
	s_load_dwordx2 s[8:9], s[4:5], 0x8
	;; [unrolled: 1-line block ×3, first 2 shown]
	s_waitcnt lgkmcnt(0)
	s_bitcmp1_b32 s17, 0
	s_cselect_b64 s[10:11], -1, 0
	s_xor_b64 s[2:3], s[10:11], -1
	s_and_b64 vcc, exec, s[10:11]
	v_pk_mov_b32 v[2:3], s[8:9], s[8:9] op_sel:[0,1]
	s_cbranch_vccnz .LBB83_2
; %bb.1:
	v_pk_mov_b32 v[2:3], s[8:9], s[8:9] op_sel:[0,1]
	flat_load_dwordx2 v[2:3], v[2:3]
.LBB83_2:
	s_andn2_b64 vcc, exec, s[2:3]
	v_pk_mov_b32 v[4:5], s[0:1], s[0:1] op_sel:[0,1]
	s_cbranch_vccnz .LBB83_4
; %bb.3:
	v_pk_mov_b32 v[4:5], s[0:1], s[0:1] op_sel:[0,1]
	flat_load_dwordx2 v[4:5], v[4:5]
.LBB83_4:
	s_waitcnt vmcnt(0) lgkmcnt(0)
	v_cmp_neq_f64_e32 vcc, 0, v[2:3]
	v_cmp_neq_f64_e64 s[0:1], 1.0, v[4:5]
	s_or_b64 s[0:1], vcc, s[0:1]
	s_and_saveexec_b64 s[2:3], s[0:1]
	s_cbranch_execz .LBB83_26
; %bb.5:
	s_load_dwordx2 s[0:1], s[4:5], 0x18
	s_waitcnt lgkmcnt(0)
	s_cmp_eq_u64 s[0:1], 0
	s_cbranch_scc1 .LBB83_7
; %bb.6:
	s_ashr_i32 s7, s6, 31
	s_lshl_b64 s[2:3], s[6:7], 2
	s_add_u32 s0, s0, s2
	s_addc_u32 s1, s1, s3
	s_load_dword s0, s[0:1], 0x0
	s_waitcnt lgkmcnt(0)
	s_sub_i32 s6, s0, s16
.LBB83_7:
	s_load_dword s17, s[4:5], 0x40
	v_lshrrev_b32_e32 v6, 5, v0
	s_waitcnt lgkmcnt(0)
	v_cmp_gt_i32_e32 vcc, s17, v6
	s_and_b64 exec, exec, vcc
	s_cbranch_execz .LBB83_26
; %bb.8:
	s_load_dwordx8 s[8:15], s[4:5], 0x20
	s_ashr_i32 s7, s6, 31
	s_lshl_b64 s[0:1], s[6:7], 2
	s_mul_hi_u32 s31, s17, s17
	s_mul_i32 s33, s17, s17
	s_waitcnt lgkmcnt(0)
	s_add_u32 s2, s8, s0
	s_addc_u32 s3, s9, s1
	s_load_dword s7, s[2:3], 0x0
	s_load_dwordx2 s[8:9], s[4:5], 0x58
	s_load_dwordx2 s[18:19], s[4:5], 0x48
	s_mul_i32 s35, s6, s17
	v_and_b32_e32 v0, 31, v0
	s_waitcnt lgkmcnt(0)
	s_sub_i32 s30, s7, s16
	s_add_u32 s2, s2, 4
	s_addc_u32 s3, s3, 0
	s_add_u32 s0, s10, s0
	s_addc_u32 s1, s11, s1
	s_cmp_eq_u64 s[10:11], 0
	s_cselect_b32 s1, s3, s1
	s_cselect_b32 s0, s2, s0
	s_load_dword s2, s[0:1], 0x0
	s_load_dword s3, s[4:5], 0x0
	s_mul_hi_u32 s24, s30, s33
	v_mov_b32_e32 v7, 0
	s_mov_b64 s[20:21], 0
	s_waitcnt lgkmcnt(0)
	s_sub_i32 s34, s2, s16
	s_cmp_lt_i32 s7, s2
	s_cselect_b64 s[22:23], -1, 0
	s_cmp_lg_u32 s3, 0
	s_cselect_b64 s[10:11], -1, 0
	s_ashr_i32 s6, s30, 31
	s_mul_i32 s7, s30, s31
	s_add_i32 s7, s24, s7
	s_mul_i32 s6, s6, s33
	v_cndmask_b32_e64 v8, 0, 1, s[22:23]
	v_cmp_gt_u32_e64 s[0:1], s17, v0
	v_cmp_eq_u32_e64 s[2:3], 31, v0
	v_cmp_eq_f64_e64 s[4:5], 0, v[4:5]
	s_add_i32 s36, s7, s6
	s_mul_i32 s37, s30, s33
	v_mul_lo_u32 v18, s17, v6
	s_lshl_b32 s38, s17, 5
	v_mov_b32_e32 v1, v7
	v_mul_lo_u32 v19, s17, v0
	v_cmp_ne_u32_e64 s[6:7], 1, v8
	s_branch .LBB83_10
.LBB83_9:                               ;   in Loop: Header=BB83_10 Depth=1
	s_or_b64 exec, exec, s[22:23]
	v_add_u32_e32 v6, 32, v6
	v_cmp_le_i32_e32 vcc, s17, v6
	s_or_b64 s[20:21], vcc, s[20:21]
	v_add_u32_e32 v18, s38, v18
	s_andn2_b64 exec, exec, s[20:21]
	s_cbranch_execz .LBB83_26
.LBB83_10:                              ; =>This Loop Header: Depth=1
                                        ;     Child Loop BB83_14 Depth 2
                                        ;       Child Loop BB83_17 Depth 3
	s_and_b64 vcc, exec, s[6:7]
	v_pk_mov_b32 v[8:9], 0, 0
	s_cbranch_vccnz .LBB83_21
; %bb.11:                               ;   in Loop: Header=BB83_10 Depth=1
	v_ashrrev_i32_e32 v8, 31, v18
	v_mov_b32_e32 v9, s36
	v_add_co_u32_e32 v10, vcc, s37, v18
	v_addc_co_u32_e32 v11, vcc, v9, v8, vcc
	v_pk_mov_b32 v[8:9], 0, 0
	s_mov_b32 s22, s30
	s_branch .LBB83_14
.LBB83_12:                              ;   in Loop: Header=BB83_14 Depth=2
	s_or_b64 exec, exec, s[26:27]
.LBB83_13:                              ;   in Loop: Header=BB83_14 Depth=2
	s_or_b64 exec, exec, s[24:25]
	s_add_i32 s22, s22, 1
	v_mov_b32_e32 v12, s31
	v_add_co_u32_e32 v10, vcc, s33, v10
	s_cmp_ge_i32 s22, s34
	v_addc_co_u32_e32 v11, vcc, v11, v12, vcc
	s_cbranch_scc1 .LBB83_21
.LBB83_14:                              ;   Parent Loop BB83_10 Depth=1
                                        ; =>  This Loop Header: Depth=2
                                        ;       Child Loop BB83_17 Depth 3
	s_and_saveexec_b64 s[24:25], s[0:1]
	s_cbranch_execz .LBB83_13
; %bb.15:                               ;   in Loop: Header=BB83_14 Depth=2
	s_ashr_i32 s23, s22, 31
	s_lshl_b64 s[26:27], s[22:23], 2
	s_add_u32 s26, s12, s26
	s_addc_u32 s27, s13, s27
	s_load_dword s26, s[26:27], 0x0
	s_mul_i32 s27, s31, s22
	v_mov_b32_e32 v12, s22
	s_mul_i32 s23, s33, s23
	s_add_i32 s23, s23, s27
	s_waitcnt lgkmcnt(0)
	s_sub_i32 s28, s26, s16
	v_mad_u64_u32 v[12:13], s[26:27], s33, v12, v[6:7]
	v_add_u32_e32 v13, s23, v13
	s_mul_i32 s23, s28, s17
	s_mov_b64 s[26:27], 0
	v_mov_b32_e32 v20, v19
	v_pk_mov_b32 v[14:15], v[0:1], v[0:1] op_sel:[0,1]
	s_branch .LBB83_17
.LBB83_16:                              ;   in Loop: Header=BB83_17 Depth=3
	v_lshlrev_b64 v[16:17], 2, v[16:17]
	v_mov_b32_e32 v21, s15
	v_add_co_u32_e32 v16, vcc, s14, v16
	v_addc_co_u32_e32 v17, vcc, v21, v17, vcc
	global_load_dword v21, v[16:17], off
	v_add_u32_e32 v16, s23, v14
	v_ashrrev_i32_e32 v17, 31, v16
	v_lshlrev_b64 v[16:17], 3, v[16:17]
	v_mov_b32_e32 v22, s19
	v_add_co_u32_e32 v16, vcc, s18, v16
	v_addc_co_u32_e32 v17, vcc, v22, v17, vcc
	global_load_dwordx2 v[16:17], v[16:17], off
	v_add_co_u32_e32 v14, vcc, 32, v14
	v_addc_co_u32_e32 v15, vcc, 0, v15, vcc
	v_cmp_le_i32_e32 vcc, s17, v14
	s_or_b64 s[26:27], vcc, s[26:27]
	v_add_u32_e32 v20, s38, v20
	s_waitcnt vmcnt(1)
	v_cvt_f64_f32_e32 v[22:23], v21
	s_waitcnt vmcnt(0)
	v_fmac_f64_e32 v[8:9], v[22:23], v[16:17]
	s_andn2_b64 exec, exec, s[26:27]
	s_cbranch_execz .LBB83_12
.LBB83_17:                              ;   Parent Loop BB83_10 Depth=1
                                        ;     Parent Loop BB83_14 Depth=2
                                        ; =>    This Inner Loop Header: Depth=3
	s_and_b64 vcc, exec, s[10:11]
	s_cbranch_vccz .LBB83_19
; %bb.18:                               ;   in Loop: Header=BB83_17 Depth=3
	v_ashrrev_i32_e32 v17, 31, v20
	v_add_co_u32_e32 v16, vcc, v12, v20
	v_addc_co_u32_e32 v17, vcc, v13, v17, vcc
	s_cbranch_execnz .LBB83_16
	s_branch .LBB83_20
.LBB83_19:                              ;   in Loop: Header=BB83_17 Depth=3
                                        ; implicit-def: $vgpr16_vgpr17
.LBB83_20:                              ;   in Loop: Header=BB83_17 Depth=3
	v_add_co_u32_e32 v16, vcc, v10, v14
	v_addc_co_u32_e32 v17, vcc, v11, v15, vcc
	s_branch .LBB83_16
.LBB83_21:                              ;   in Loop: Header=BB83_10 Depth=1
	s_nop 0
	v_mov_b32_dpp v10, v8 row_shr:1 row_mask:0xf bank_mask:0xf
	v_mov_b32_dpp v11, v9 row_shr:1 row_mask:0xf bank_mask:0xf
	v_add_f64 v[8:9], v[8:9], v[10:11]
	s_nop 1
	v_mov_b32_dpp v10, v8 row_shr:2 row_mask:0xf bank_mask:0xf
	v_mov_b32_dpp v11, v9 row_shr:2 row_mask:0xf bank_mask:0xf
	v_add_f64 v[8:9], v[8:9], v[10:11]
	;; [unrolled: 4-line block ×4, first 2 shown]
	s_nop 1
	v_mov_b32_dpp v10, v8 row_bcast:15 row_mask:0xa bank_mask:0xf
	v_mov_b32_dpp v11, v9 row_bcast:15 row_mask:0xa bank_mask:0xf
	s_and_saveexec_b64 s[22:23], s[2:3]
	s_cbranch_execz .LBB83_9
; %bb.22:                               ;   in Loop: Header=BB83_10 Depth=1
	v_add_f64 v[8:9], v[8:9], v[10:11]
	v_add_u32_e32 v10, s35, v6
	v_mul_f64 v[8:9], v[2:3], v[8:9]
	v_ashrrev_i32_e32 v11, 31, v10
	s_and_saveexec_b64 s[24:25], s[4:5]
	s_xor_b64 s[24:25], exec, s[24:25]
	s_cbranch_execz .LBB83_24
; %bb.23:                               ;   in Loop: Header=BB83_10 Depth=1
	v_lshlrev_b64 v[10:11], 3, v[10:11]
	v_mov_b32_e32 v12, s9
	v_add_co_u32_e32 v10, vcc, s8, v10
	v_addc_co_u32_e32 v11, vcc, v12, v11, vcc
	global_store_dwordx2 v[10:11], v[8:9], off
                                        ; implicit-def: $vgpr10
                                        ; implicit-def: $vgpr8_vgpr9
.LBB83_24:                              ;   in Loop: Header=BB83_10 Depth=1
	s_andn2_saveexec_b64 s[24:25], s[24:25]
	s_cbranch_execz .LBB83_9
; %bb.25:                               ;   in Loop: Header=BB83_10 Depth=1
	v_lshlrev_b64 v[10:11], 3, v[10:11]
	v_mov_b32_e32 v12, s9
	v_add_co_u32_e32 v10, vcc, s8, v10
	v_addc_co_u32_e32 v11, vcc, v12, v11, vcc
	global_load_dwordx2 v[12:13], v[10:11], off
	s_waitcnt vmcnt(0)
	v_fmac_f64_e32 v[8:9], v[4:5], v[12:13]
	global_store_dwordx2 v[10:11], v[8:9], off
	s_branch .LBB83_9
.LBB83_26:
	s_endpgm
	.section	.rodata,"a",@progbits
	.p2align	6, 0x0
	.amdhsa_kernel _ZN9rocsparseL22bsrxmvn_general_kernelILj1024ELj32EdiifddEEv20rocsparse_direction_NS_24const_host_device_scalarIT1_EET3_PKS5_PKT2_SA_S7_PKT4_S5_PKT5_S4_PT6_21rocsparse_index_base_b
		.amdhsa_group_segment_fixed_size 0
		.amdhsa_private_segment_fixed_size 0
		.amdhsa_kernarg_size 104
		.amdhsa_user_sgpr_count 6
		.amdhsa_user_sgpr_private_segment_buffer 1
		.amdhsa_user_sgpr_dispatch_ptr 0
		.amdhsa_user_sgpr_queue_ptr 0
		.amdhsa_user_sgpr_kernarg_segment_ptr 1
		.amdhsa_user_sgpr_dispatch_id 0
		.amdhsa_user_sgpr_flat_scratch_init 0
		.amdhsa_user_sgpr_kernarg_preload_length 0
		.amdhsa_user_sgpr_kernarg_preload_offset 0
		.amdhsa_user_sgpr_private_segment_size 0
		.amdhsa_uses_dynamic_stack 0
		.amdhsa_system_sgpr_private_segment_wavefront_offset 0
		.amdhsa_system_sgpr_workgroup_id_x 1
		.amdhsa_system_sgpr_workgroup_id_y 0
		.amdhsa_system_sgpr_workgroup_id_z 0
		.amdhsa_system_sgpr_workgroup_info 0
		.amdhsa_system_vgpr_workitem_id 0
		.amdhsa_next_free_vgpr 24
		.amdhsa_next_free_sgpr 39
		.amdhsa_accum_offset 24
		.amdhsa_reserve_vcc 1
		.amdhsa_reserve_flat_scratch 0
		.amdhsa_float_round_mode_32 0
		.amdhsa_float_round_mode_16_64 0
		.amdhsa_float_denorm_mode_32 3
		.amdhsa_float_denorm_mode_16_64 3
		.amdhsa_dx10_clamp 1
		.amdhsa_ieee_mode 1
		.amdhsa_fp16_overflow 0
		.amdhsa_tg_split 0
		.amdhsa_exception_fp_ieee_invalid_op 0
		.amdhsa_exception_fp_denorm_src 0
		.amdhsa_exception_fp_ieee_div_zero 0
		.amdhsa_exception_fp_ieee_overflow 0
		.amdhsa_exception_fp_ieee_underflow 0
		.amdhsa_exception_fp_ieee_inexact 0
		.amdhsa_exception_int_div_zero 0
	.end_amdhsa_kernel
	.section	.text._ZN9rocsparseL22bsrxmvn_general_kernelILj1024ELj32EdiifddEEv20rocsparse_direction_NS_24const_host_device_scalarIT1_EET3_PKS5_PKT2_SA_S7_PKT4_S5_PKT5_S4_PT6_21rocsparse_index_base_b,"axG",@progbits,_ZN9rocsparseL22bsrxmvn_general_kernelILj1024ELj32EdiifddEEv20rocsparse_direction_NS_24const_host_device_scalarIT1_EET3_PKS5_PKT2_SA_S7_PKT4_S5_PKT5_S4_PT6_21rocsparse_index_base_b,comdat
.Lfunc_end83:
	.size	_ZN9rocsparseL22bsrxmvn_general_kernelILj1024ELj32EdiifddEEv20rocsparse_direction_NS_24const_host_device_scalarIT1_EET3_PKS5_PKT2_SA_S7_PKT4_S5_PKT5_S4_PT6_21rocsparse_index_base_b, .Lfunc_end83-_ZN9rocsparseL22bsrxmvn_general_kernelILj1024ELj32EdiifddEEv20rocsparse_direction_NS_24const_host_device_scalarIT1_EET3_PKS5_PKT2_SA_S7_PKT4_S5_PKT5_S4_PT6_21rocsparse_index_base_b
                                        ; -- End function
	.section	.AMDGPU.csdata,"",@progbits
; Kernel info:
; codeLenInByte = 1072
; NumSgprs: 43
; NumVgprs: 24
; NumAgprs: 0
; TotalNumVgprs: 24
; ScratchSize: 0
; MemoryBound: 0
; FloatMode: 240
; IeeeMode: 1
; LDSByteSize: 0 bytes/workgroup (compile time only)
; SGPRBlocks: 5
; VGPRBlocks: 2
; NumSGPRsForWavesPerEU: 43
; NumVGPRsForWavesPerEU: 24
; AccumOffset: 24
; Occupancy: 8
; WaveLimiterHint : 1
; COMPUTE_PGM_RSRC2:SCRATCH_EN: 0
; COMPUTE_PGM_RSRC2:USER_SGPR: 6
; COMPUTE_PGM_RSRC2:TRAP_HANDLER: 0
; COMPUTE_PGM_RSRC2:TGID_X_EN: 1
; COMPUTE_PGM_RSRC2:TGID_Y_EN: 0
; COMPUTE_PGM_RSRC2:TGID_Z_EN: 0
; COMPUTE_PGM_RSRC2:TIDIG_COMP_CNT: 0
; COMPUTE_PGM_RSRC3_GFX90A:ACCUM_OFFSET: 5
; COMPUTE_PGM_RSRC3_GFX90A:TG_SPLIT: 0
	.section	.text._ZN9rocsparseL22bsrxmvn_general_kernelILj64ELj8EdlifddEEv20rocsparse_direction_NS_24const_host_device_scalarIT1_EET3_PKS5_PKT2_SA_S7_PKT4_S5_PKT5_S4_PT6_21rocsparse_index_base_b,"axG",@progbits,_ZN9rocsparseL22bsrxmvn_general_kernelILj64ELj8EdlifddEEv20rocsparse_direction_NS_24const_host_device_scalarIT1_EET3_PKS5_PKT2_SA_S7_PKT4_S5_PKT5_S4_PT6_21rocsparse_index_base_b,comdat
	.globl	_ZN9rocsparseL22bsrxmvn_general_kernelILj64ELj8EdlifddEEv20rocsparse_direction_NS_24const_host_device_scalarIT1_EET3_PKS5_PKT2_SA_S7_PKT4_S5_PKT5_S4_PT6_21rocsparse_index_base_b ; -- Begin function _ZN9rocsparseL22bsrxmvn_general_kernelILj64ELj8EdlifddEEv20rocsparse_direction_NS_24const_host_device_scalarIT1_EET3_PKS5_PKT2_SA_S7_PKT4_S5_PKT5_S4_PT6_21rocsparse_index_base_b
	.p2align	8
	.type	_ZN9rocsparseL22bsrxmvn_general_kernelILj64ELj8EdlifddEEv20rocsparse_direction_NS_24const_host_device_scalarIT1_EET3_PKS5_PKT2_SA_S7_PKT4_S5_PKT5_S4_PT6_21rocsparse_index_base_b,@function
_ZN9rocsparseL22bsrxmvn_general_kernelILj64ELj8EdlifddEEv20rocsparse_direction_NS_24const_host_device_scalarIT1_EET3_PKS5_PKT2_SA_S7_PKT4_S5_PKT5_S4_PT6_21rocsparse_index_base_b: ; @_ZN9rocsparseL22bsrxmvn_general_kernelILj64ELj8EdlifddEEv20rocsparse_direction_NS_24const_host_device_scalarIT1_EET3_PKS5_PKT2_SA_S7_PKT4_S5_PKT5_S4_PT6_21rocsparse_index_base_b
; %bb.0:
	s_load_dwordx2 s[16:17], s[4:5], 0x60
	s_load_dwordx2 s[8:9], s[4:5], 0x8
	;; [unrolled: 1-line block ×3, first 2 shown]
	s_waitcnt lgkmcnt(0)
	s_bitcmp1_b32 s17, 0
	s_cselect_b64 s[10:11], -1, 0
	s_xor_b64 s[2:3], s[10:11], -1
	s_and_b64 vcc, exec, s[10:11]
	v_pk_mov_b32 v[2:3], s[8:9], s[8:9] op_sel:[0,1]
	s_cbranch_vccnz .LBB84_2
; %bb.1:
	v_pk_mov_b32 v[2:3], s[8:9], s[8:9] op_sel:[0,1]
	flat_load_dwordx2 v[2:3], v[2:3]
.LBB84_2:
	s_andn2_b64 vcc, exec, s[2:3]
	v_pk_mov_b32 v[4:5], s[0:1], s[0:1] op_sel:[0,1]
	s_cbranch_vccnz .LBB84_4
; %bb.3:
	v_pk_mov_b32 v[4:5], s[0:1], s[0:1] op_sel:[0,1]
	flat_load_dwordx2 v[4:5], v[4:5]
.LBB84_4:
	s_waitcnt vmcnt(0) lgkmcnt(0)
	v_cmp_neq_f64_e32 vcc, 0, v[2:3]
	v_cmp_neq_f64_e64 s[0:1], 1.0, v[4:5]
	s_or_b64 s[0:1], vcc, s[0:1]
	s_and_saveexec_b64 s[2:3], s[0:1]
	s_cbranch_execz .LBB84_26
; %bb.5:
	s_load_dwordx2 s[0:1], s[4:5], 0x18
	s_waitcnt lgkmcnt(0)
	s_cmp_eq_u64 s[0:1], 0
	s_cbranch_scc1 .LBB84_7
; %bb.6:
	s_ashr_i32 s7, s6, 31
	s_lshl_b64 s[2:3], s[6:7], 2
	s_add_u32 s0, s0, s2
	s_addc_u32 s1, s1, s3
	s_load_dword s0, s[0:1], 0x0
	s_waitcnt lgkmcnt(0)
	s_sub_i32 s6, s0, s16
.LBB84_7:
	s_load_dword s17, s[4:5], 0x40
	v_lshrrev_b32_e32 v6, 3, v0
	s_waitcnt lgkmcnt(0)
	v_cmp_gt_i32_e32 vcc, s17, v6
	s_and_b64 exec, exec, vcc
	s_cbranch_execz .LBB84_26
; %bb.8:
	s_load_dwordx8 s[8:15], s[4:5], 0x20
	s_ashr_i32 s7, s6, 31
	s_lshl_b64 s[0:1], s[6:7], 3
	s_mul_hi_u32 s33, s17, s17
	s_mul_i32 s36, s17, s17
	s_waitcnt lgkmcnt(0)
	s_add_u32 s2, s8, s0
	s_addc_u32 s3, s9, s1
	s_load_dwordx2 s[26:27], s[2:3], 0x0
	s_load_dwordx2 s[8:9], s[4:5], 0x58
	;; [unrolled: 1-line block ×3, first 2 shown]
	s_mul_i32 s37, s6, s17
	v_and_b32_e32 v0, 7, v0
	s_waitcnt lgkmcnt(0)
	s_sub_u32 s22, s26, s16
	s_subb_u32 s23, s27, 0
	s_add_u32 s2, s2, 8
	s_addc_u32 s3, s3, 0
	s_add_u32 s0, s10, s0
	s_addc_u32 s1, s11, s1
	s_cmp_eq_u64 s[10:11], 0
	s_cselect_b32 s1, s3, s1
	s_cselect_b32 s0, s2, s0
	s_load_dwordx2 s[2:3], s[0:1], 0x0
	s_load_dword s7, s[4:5], 0x0
	s_mul_i32 s6, s22, s33
	s_mov_b64 s[20:21], 0
	v_cmp_gt_u32_e64 s[0:1], s17, v0
	s_waitcnt lgkmcnt(0)
	s_sub_u32 s10, s2, s16
	v_pk_mov_b32 v[8:9], s[2:3], s[2:3] op_sel:[0,1]
	s_subb_u32 s11, s3, 0
	s_cmp_lg_u32 s7, 0
	s_mul_hi_u32 s7, s22, s36
	v_cmp_lt_i64_e32 vcc, s[26:27], v[8:9]
	s_cselect_b64 s[24:25], -1, 0
	s_add_i32 s6, s7, s6
	s_mul_i32 s7, s23, s36
	v_cndmask_b32_e64 v7, 0, 1, vcc
	v_cmp_eq_u32_e64 s[2:3], 7, v0
	v_cmp_eq_f64_e64 s[4:5], 0, v[4:5]
	s_add_i32 s38, s6, s7
	s_mul_i32 s39, s22, s36
	v_mul_lo_u32 v18, s17, v6
	s_lshl_b32 s40, s17, 3
	v_mov_b32_e32 v1, 0
	v_mul_lo_u32 v19, s17, v0
	v_cmp_ne_u32_e64 s[6:7], 1, v7
	s_branch .LBB84_10
.LBB84_9:                               ;   in Loop: Header=BB84_10 Depth=1
	s_or_b64 exec, exec, s[26:27]
	v_add_u32_e32 v6, 8, v6
	v_cmp_le_i32_e32 vcc, s17, v6
	s_or_b64 s[20:21], vcc, s[20:21]
	v_add_u32_e32 v18, s40, v18
	s_andn2_b64 exec, exec, s[20:21]
	s_cbranch_execz .LBB84_26
.LBB84_10:                              ; =>This Loop Header: Depth=1
                                        ;     Child Loop BB84_14 Depth 2
                                        ;       Child Loop BB84_17 Depth 3
	s_and_b64 vcc, exec, s[6:7]
	v_pk_mov_b32 v[8:9], 0, 0
	s_cbranch_vccnz .LBB84_21
; %bb.11:                               ;   in Loop: Header=BB84_10 Depth=1
	v_ashrrev_i32_e32 v7, 31, v18
	v_mov_b32_e32 v8, s38
	v_add_co_u32_e32 v10, vcc, s39, v18
	v_addc_co_u32_e32 v11, vcc, v8, v7, vcc
	v_ashrrev_i32_e32 v7, 31, v6
	v_pk_mov_b32 v[8:9], 0, 0
	s_mov_b64 s[26:27], s[22:23]
	s_branch .LBB84_14
.LBB84_12:                              ;   in Loop: Header=BB84_14 Depth=2
	s_or_b64 exec, exec, s[30:31]
.LBB84_13:                              ;   in Loop: Header=BB84_14 Depth=2
	s_or_b64 exec, exec, s[28:29]
	s_add_u32 s26, s26, 1
	v_mov_b32_e32 v12, s33
	v_add_co_u32_e32 v10, vcc, s36, v10
	s_addc_u32 s27, s27, 0
	v_addc_co_u32_e32 v11, vcc, v11, v12, vcc
	v_pk_mov_b32 v[12:13], s[10:11], s[10:11] op_sel:[0,1]
	v_cmp_ge_i64_e32 vcc, s[26:27], v[12:13]
	s_cbranch_vccnz .LBB84_21
.LBB84_14:                              ;   Parent Loop BB84_10 Depth=1
                                        ; =>  This Loop Header: Depth=2
                                        ;       Child Loop BB84_17 Depth 3
	s_and_saveexec_b64 s[28:29], s[0:1]
	s_cbranch_execz .LBB84_13
; %bb.15:                               ;   in Loop: Header=BB84_14 Depth=2
	s_lshl_b64 s[30:31], s[26:27], 2
	s_add_u32 s30, s12, s30
	s_addc_u32 s31, s13, s31
	s_load_dword s30, s[30:31], 0x0
	s_mul_i32 s31, s33, s26
	s_mul_i32 s34, s36, s27
	v_mov_b32_e32 v12, s26
	s_add_i32 s34, s34, s31
	s_waitcnt lgkmcnt(0)
	s_sub_i32 s35, s30, s16
	v_mad_u64_u32 v[12:13], s[30:31], s36, v12, v[6:7]
	v_add_u32_e32 v13, s34, v13
	s_mul_i32 s41, s35, s17
	s_mov_b64 s[30:31], 0
	v_mov_b32_e32 v20, v19
	v_pk_mov_b32 v[14:15], v[0:1], v[0:1] op_sel:[0,1]
	s_branch .LBB84_17
.LBB84_16:                              ;   in Loop: Header=BB84_17 Depth=3
	v_lshlrev_b64 v[16:17], 2, v[16:17]
	v_mov_b32_e32 v21, s15
	v_add_co_u32_e32 v16, vcc, s14, v16
	v_addc_co_u32_e32 v17, vcc, v21, v17, vcc
	global_load_dword v21, v[16:17], off
	v_add_u32_e32 v16, s41, v14
	v_ashrrev_i32_e32 v17, 31, v16
	v_lshlrev_b64 v[16:17], 3, v[16:17]
	v_mov_b32_e32 v22, s19
	v_add_co_u32_e32 v16, vcc, s18, v16
	v_addc_co_u32_e32 v17, vcc, v22, v17, vcc
	global_load_dwordx2 v[16:17], v[16:17], off
	v_add_co_u32_e32 v14, vcc, 8, v14
	v_addc_co_u32_e32 v15, vcc, 0, v15, vcc
	v_cmp_le_i32_e32 vcc, s17, v14
	s_or_b64 s[30:31], vcc, s[30:31]
	v_add_u32_e32 v20, s40, v20
	s_waitcnt vmcnt(1)
	v_cvt_f64_f32_e32 v[22:23], v21
	s_waitcnt vmcnt(0)
	v_fmac_f64_e32 v[8:9], v[22:23], v[16:17]
	s_andn2_b64 exec, exec, s[30:31]
	s_cbranch_execz .LBB84_12
.LBB84_17:                              ;   Parent Loop BB84_10 Depth=1
                                        ;     Parent Loop BB84_14 Depth=2
                                        ; =>    This Inner Loop Header: Depth=3
	s_and_b64 vcc, exec, s[24:25]
	s_cbranch_vccz .LBB84_19
; %bb.18:                               ;   in Loop: Header=BB84_17 Depth=3
	v_ashrrev_i32_e32 v17, 31, v20
	v_add_co_u32_e32 v16, vcc, v12, v20
	v_addc_co_u32_e32 v17, vcc, v13, v17, vcc
	s_cbranch_execnz .LBB84_16
	s_branch .LBB84_20
.LBB84_19:                              ;   in Loop: Header=BB84_17 Depth=3
                                        ; implicit-def: $vgpr16_vgpr17
.LBB84_20:                              ;   in Loop: Header=BB84_17 Depth=3
	v_add_co_u32_e32 v16, vcc, v10, v14
	v_addc_co_u32_e32 v17, vcc, v11, v15, vcc
	s_branch .LBB84_16
.LBB84_21:                              ;   in Loop: Header=BB84_10 Depth=1
	s_nop 0
	v_mov_b32_dpp v10, v8 row_shr:1 row_mask:0xf bank_mask:0xf
	v_mov_b32_dpp v11, v9 row_shr:1 row_mask:0xf bank_mask:0xf
	v_add_f64 v[8:9], v[8:9], v[10:11]
	s_nop 1
	v_mov_b32_dpp v10, v8 row_shr:2 row_mask:0xf bank_mask:0xf
	v_mov_b32_dpp v11, v9 row_shr:2 row_mask:0xf bank_mask:0xf
	v_add_f64 v[8:9], v[8:9], v[10:11]
	s_nop 1
	v_mov_b32_dpp v10, v8 row_shr:4 row_mask:0xf bank_mask:0xe
	v_mov_b32_dpp v11, v9 row_shr:4 row_mask:0xf bank_mask:0xe
	s_and_saveexec_b64 s[26:27], s[2:3]
	s_cbranch_execz .LBB84_9
; %bb.22:                               ;   in Loop: Header=BB84_10 Depth=1
	v_add_f64 v[8:9], v[8:9], v[10:11]
	v_add_u32_e32 v10, s37, v6
	v_mul_f64 v[8:9], v[2:3], v[8:9]
	v_ashrrev_i32_e32 v11, 31, v10
	s_and_saveexec_b64 s[28:29], s[4:5]
	s_xor_b64 s[28:29], exec, s[28:29]
	s_cbranch_execz .LBB84_24
; %bb.23:                               ;   in Loop: Header=BB84_10 Depth=1
	v_lshlrev_b64 v[10:11], 3, v[10:11]
	v_mov_b32_e32 v7, s9
	v_add_co_u32_e32 v10, vcc, s8, v10
	v_addc_co_u32_e32 v11, vcc, v7, v11, vcc
	global_store_dwordx2 v[10:11], v[8:9], off
                                        ; implicit-def: $vgpr10
                                        ; implicit-def: $vgpr8_vgpr9
.LBB84_24:                              ;   in Loop: Header=BB84_10 Depth=1
	s_andn2_saveexec_b64 s[28:29], s[28:29]
	s_cbranch_execz .LBB84_9
; %bb.25:                               ;   in Loop: Header=BB84_10 Depth=1
	v_lshlrev_b64 v[10:11], 3, v[10:11]
	v_mov_b32_e32 v7, s9
	v_add_co_u32_e32 v10, vcc, s8, v10
	v_addc_co_u32_e32 v11, vcc, v7, v11, vcc
	global_load_dwordx2 v[12:13], v[10:11], off
	s_waitcnt vmcnt(0)
	v_fmac_f64_e32 v[8:9], v[4:5], v[12:13]
	global_store_dwordx2 v[10:11], v[8:9], off
	s_branch .LBB84_9
.LBB84_26:
	s_endpgm
	.section	.rodata,"a",@progbits
	.p2align	6, 0x0
	.amdhsa_kernel _ZN9rocsparseL22bsrxmvn_general_kernelILj64ELj8EdlifddEEv20rocsparse_direction_NS_24const_host_device_scalarIT1_EET3_PKS5_PKT2_SA_S7_PKT4_S5_PKT5_S4_PT6_21rocsparse_index_base_b
		.amdhsa_group_segment_fixed_size 0
		.amdhsa_private_segment_fixed_size 0
		.amdhsa_kernarg_size 104
		.amdhsa_user_sgpr_count 6
		.amdhsa_user_sgpr_private_segment_buffer 1
		.amdhsa_user_sgpr_dispatch_ptr 0
		.amdhsa_user_sgpr_queue_ptr 0
		.amdhsa_user_sgpr_kernarg_segment_ptr 1
		.amdhsa_user_sgpr_dispatch_id 0
		.amdhsa_user_sgpr_flat_scratch_init 0
		.amdhsa_user_sgpr_kernarg_preload_length 0
		.amdhsa_user_sgpr_kernarg_preload_offset 0
		.amdhsa_user_sgpr_private_segment_size 0
		.amdhsa_uses_dynamic_stack 0
		.amdhsa_system_sgpr_private_segment_wavefront_offset 0
		.amdhsa_system_sgpr_workgroup_id_x 1
		.amdhsa_system_sgpr_workgroup_id_y 0
		.amdhsa_system_sgpr_workgroup_id_z 0
		.amdhsa_system_sgpr_workgroup_info 0
		.amdhsa_system_vgpr_workitem_id 0
		.amdhsa_next_free_vgpr 24
		.amdhsa_next_free_sgpr 42
		.amdhsa_accum_offset 24
		.amdhsa_reserve_vcc 1
		.amdhsa_reserve_flat_scratch 0
		.amdhsa_float_round_mode_32 0
		.amdhsa_float_round_mode_16_64 0
		.amdhsa_float_denorm_mode_32 3
		.amdhsa_float_denorm_mode_16_64 3
		.amdhsa_dx10_clamp 1
		.amdhsa_ieee_mode 1
		.amdhsa_fp16_overflow 0
		.amdhsa_tg_split 0
		.amdhsa_exception_fp_ieee_invalid_op 0
		.amdhsa_exception_fp_denorm_src 0
		.amdhsa_exception_fp_ieee_div_zero 0
		.amdhsa_exception_fp_ieee_overflow 0
		.amdhsa_exception_fp_ieee_underflow 0
		.amdhsa_exception_fp_ieee_inexact 0
		.amdhsa_exception_int_div_zero 0
	.end_amdhsa_kernel
	.section	.text._ZN9rocsparseL22bsrxmvn_general_kernelILj64ELj8EdlifddEEv20rocsparse_direction_NS_24const_host_device_scalarIT1_EET3_PKS5_PKT2_SA_S7_PKT4_S5_PKT5_S4_PT6_21rocsparse_index_base_b,"axG",@progbits,_ZN9rocsparseL22bsrxmvn_general_kernelILj64ELj8EdlifddEEv20rocsparse_direction_NS_24const_host_device_scalarIT1_EET3_PKS5_PKT2_SA_S7_PKT4_S5_PKT5_S4_PT6_21rocsparse_index_base_b,comdat
.Lfunc_end84:
	.size	_ZN9rocsparseL22bsrxmvn_general_kernelILj64ELj8EdlifddEEv20rocsparse_direction_NS_24const_host_device_scalarIT1_EET3_PKS5_PKT2_SA_S7_PKT4_S5_PKT5_S4_PT6_21rocsparse_index_base_b, .Lfunc_end84-_ZN9rocsparseL22bsrxmvn_general_kernelILj64ELj8EdlifddEEv20rocsparse_direction_NS_24const_host_device_scalarIT1_EET3_PKS5_PKT2_SA_S7_PKT4_S5_PKT5_S4_PT6_21rocsparse_index_base_b
                                        ; -- End function
	.section	.AMDGPU.csdata,"",@progbits
; Kernel info:
; codeLenInByte = 1032
; NumSgprs: 46
; NumVgprs: 24
; NumAgprs: 0
; TotalNumVgprs: 24
; ScratchSize: 0
; MemoryBound: 0
; FloatMode: 240
; IeeeMode: 1
; LDSByteSize: 0 bytes/workgroup (compile time only)
; SGPRBlocks: 5
; VGPRBlocks: 2
; NumSGPRsForWavesPerEU: 46
; NumVGPRsForWavesPerEU: 24
; AccumOffset: 24
; Occupancy: 8
; WaveLimiterHint : 1
; COMPUTE_PGM_RSRC2:SCRATCH_EN: 0
; COMPUTE_PGM_RSRC2:USER_SGPR: 6
; COMPUTE_PGM_RSRC2:TRAP_HANDLER: 0
; COMPUTE_PGM_RSRC2:TGID_X_EN: 1
; COMPUTE_PGM_RSRC2:TGID_Y_EN: 0
; COMPUTE_PGM_RSRC2:TGID_Z_EN: 0
; COMPUTE_PGM_RSRC2:TIDIG_COMP_CNT: 0
; COMPUTE_PGM_RSRC3_GFX90A:ACCUM_OFFSET: 5
; COMPUTE_PGM_RSRC3_GFX90A:TG_SPLIT: 0
	.section	.text._ZN9rocsparseL22bsrxmvn_general_kernelILj256ELj16EdlifddEEv20rocsparse_direction_NS_24const_host_device_scalarIT1_EET3_PKS5_PKT2_SA_S7_PKT4_S5_PKT5_S4_PT6_21rocsparse_index_base_b,"axG",@progbits,_ZN9rocsparseL22bsrxmvn_general_kernelILj256ELj16EdlifddEEv20rocsparse_direction_NS_24const_host_device_scalarIT1_EET3_PKS5_PKT2_SA_S7_PKT4_S5_PKT5_S4_PT6_21rocsparse_index_base_b,comdat
	.globl	_ZN9rocsparseL22bsrxmvn_general_kernelILj256ELj16EdlifddEEv20rocsparse_direction_NS_24const_host_device_scalarIT1_EET3_PKS5_PKT2_SA_S7_PKT4_S5_PKT5_S4_PT6_21rocsparse_index_base_b ; -- Begin function _ZN9rocsparseL22bsrxmvn_general_kernelILj256ELj16EdlifddEEv20rocsparse_direction_NS_24const_host_device_scalarIT1_EET3_PKS5_PKT2_SA_S7_PKT4_S5_PKT5_S4_PT6_21rocsparse_index_base_b
	.p2align	8
	.type	_ZN9rocsparseL22bsrxmvn_general_kernelILj256ELj16EdlifddEEv20rocsparse_direction_NS_24const_host_device_scalarIT1_EET3_PKS5_PKT2_SA_S7_PKT4_S5_PKT5_S4_PT6_21rocsparse_index_base_b,@function
_ZN9rocsparseL22bsrxmvn_general_kernelILj256ELj16EdlifddEEv20rocsparse_direction_NS_24const_host_device_scalarIT1_EET3_PKS5_PKT2_SA_S7_PKT4_S5_PKT5_S4_PT6_21rocsparse_index_base_b: ; @_ZN9rocsparseL22bsrxmvn_general_kernelILj256ELj16EdlifddEEv20rocsparse_direction_NS_24const_host_device_scalarIT1_EET3_PKS5_PKT2_SA_S7_PKT4_S5_PKT5_S4_PT6_21rocsparse_index_base_b
; %bb.0:
	s_load_dwordx2 s[16:17], s[4:5], 0x60
	s_load_dwordx2 s[8:9], s[4:5], 0x8
	;; [unrolled: 1-line block ×3, first 2 shown]
	s_waitcnt lgkmcnt(0)
	s_bitcmp1_b32 s17, 0
	s_cselect_b64 s[10:11], -1, 0
	s_xor_b64 s[2:3], s[10:11], -1
	s_and_b64 vcc, exec, s[10:11]
	v_pk_mov_b32 v[2:3], s[8:9], s[8:9] op_sel:[0,1]
	s_cbranch_vccnz .LBB85_2
; %bb.1:
	v_pk_mov_b32 v[2:3], s[8:9], s[8:9] op_sel:[0,1]
	flat_load_dwordx2 v[2:3], v[2:3]
.LBB85_2:
	s_andn2_b64 vcc, exec, s[2:3]
	v_pk_mov_b32 v[4:5], s[0:1], s[0:1] op_sel:[0,1]
	s_cbranch_vccnz .LBB85_4
; %bb.3:
	v_pk_mov_b32 v[4:5], s[0:1], s[0:1] op_sel:[0,1]
	flat_load_dwordx2 v[4:5], v[4:5]
.LBB85_4:
	s_waitcnt vmcnt(0) lgkmcnt(0)
	v_cmp_neq_f64_e32 vcc, 0, v[2:3]
	v_cmp_neq_f64_e64 s[0:1], 1.0, v[4:5]
	s_or_b64 s[0:1], vcc, s[0:1]
	s_and_saveexec_b64 s[2:3], s[0:1]
	s_cbranch_execz .LBB85_26
; %bb.5:
	s_load_dwordx2 s[0:1], s[4:5], 0x18
	s_waitcnt lgkmcnt(0)
	s_cmp_eq_u64 s[0:1], 0
	s_cbranch_scc1 .LBB85_7
; %bb.6:
	s_ashr_i32 s7, s6, 31
	s_lshl_b64 s[2:3], s[6:7], 2
	s_add_u32 s0, s0, s2
	s_addc_u32 s1, s1, s3
	s_load_dword s0, s[0:1], 0x0
	s_waitcnt lgkmcnt(0)
	s_sub_i32 s6, s0, s16
.LBB85_7:
	s_load_dword s17, s[4:5], 0x40
	v_lshrrev_b32_e32 v6, 4, v0
	s_waitcnt lgkmcnt(0)
	v_cmp_gt_i32_e32 vcc, s17, v6
	s_and_b64 exec, exec, vcc
	s_cbranch_execz .LBB85_26
; %bb.8:
	s_load_dwordx8 s[8:15], s[4:5], 0x20
	s_ashr_i32 s7, s6, 31
	s_lshl_b64 s[0:1], s[6:7], 3
	s_mul_hi_u32 s33, s17, s17
	s_mul_i32 s36, s17, s17
	s_waitcnt lgkmcnt(0)
	s_add_u32 s2, s8, s0
	s_addc_u32 s3, s9, s1
	s_load_dwordx2 s[26:27], s[2:3], 0x0
	s_load_dwordx2 s[8:9], s[4:5], 0x58
	;; [unrolled: 1-line block ×3, first 2 shown]
	s_mul_i32 s37, s6, s17
	v_and_b32_e32 v0, 15, v0
	s_waitcnt lgkmcnt(0)
	s_sub_u32 s22, s26, s16
	s_subb_u32 s23, s27, 0
	s_add_u32 s2, s2, 8
	s_addc_u32 s3, s3, 0
	s_add_u32 s0, s10, s0
	s_addc_u32 s1, s11, s1
	s_cmp_eq_u64 s[10:11], 0
	s_cselect_b32 s1, s3, s1
	s_cselect_b32 s0, s2, s0
	s_load_dwordx2 s[2:3], s[0:1], 0x0
	s_load_dword s7, s[4:5], 0x0
	s_mul_i32 s6, s22, s33
	s_mov_b64 s[20:21], 0
	v_cmp_gt_u32_e64 s[0:1], s17, v0
	s_waitcnt lgkmcnt(0)
	s_sub_u32 s10, s2, s16
	v_pk_mov_b32 v[8:9], s[2:3], s[2:3] op_sel:[0,1]
	s_subb_u32 s11, s3, 0
	s_cmp_lg_u32 s7, 0
	s_mul_hi_u32 s7, s22, s36
	v_cmp_lt_i64_e32 vcc, s[26:27], v[8:9]
	s_cselect_b64 s[24:25], -1, 0
	s_add_i32 s6, s7, s6
	s_mul_i32 s7, s23, s36
	v_cndmask_b32_e64 v7, 0, 1, vcc
	v_cmp_eq_u32_e64 s[2:3], 15, v0
	v_cmp_eq_f64_e64 s[4:5], 0, v[4:5]
	s_add_i32 s38, s6, s7
	s_mul_i32 s39, s22, s36
	v_mul_lo_u32 v18, s17, v6
	s_lshl_b32 s40, s17, 4
	v_mov_b32_e32 v1, 0
	v_mul_lo_u32 v19, s17, v0
	v_cmp_ne_u32_e64 s[6:7], 1, v7
	s_branch .LBB85_10
.LBB85_9:                               ;   in Loop: Header=BB85_10 Depth=1
	s_or_b64 exec, exec, s[26:27]
	v_add_u32_e32 v6, 16, v6
	v_cmp_le_i32_e32 vcc, s17, v6
	s_or_b64 s[20:21], vcc, s[20:21]
	v_add_u32_e32 v18, s40, v18
	s_andn2_b64 exec, exec, s[20:21]
	s_cbranch_execz .LBB85_26
.LBB85_10:                              ; =>This Loop Header: Depth=1
                                        ;     Child Loop BB85_14 Depth 2
                                        ;       Child Loop BB85_17 Depth 3
	s_and_b64 vcc, exec, s[6:7]
	v_pk_mov_b32 v[8:9], 0, 0
	s_cbranch_vccnz .LBB85_21
; %bb.11:                               ;   in Loop: Header=BB85_10 Depth=1
	v_ashrrev_i32_e32 v7, 31, v18
	v_mov_b32_e32 v8, s38
	v_add_co_u32_e32 v10, vcc, s39, v18
	v_addc_co_u32_e32 v11, vcc, v8, v7, vcc
	v_ashrrev_i32_e32 v7, 31, v6
	v_pk_mov_b32 v[8:9], 0, 0
	s_mov_b64 s[26:27], s[22:23]
	s_branch .LBB85_14
.LBB85_12:                              ;   in Loop: Header=BB85_14 Depth=2
	s_or_b64 exec, exec, s[30:31]
.LBB85_13:                              ;   in Loop: Header=BB85_14 Depth=2
	s_or_b64 exec, exec, s[28:29]
	s_add_u32 s26, s26, 1
	v_mov_b32_e32 v12, s33
	v_add_co_u32_e32 v10, vcc, s36, v10
	s_addc_u32 s27, s27, 0
	v_addc_co_u32_e32 v11, vcc, v11, v12, vcc
	v_pk_mov_b32 v[12:13], s[10:11], s[10:11] op_sel:[0,1]
	v_cmp_ge_i64_e32 vcc, s[26:27], v[12:13]
	s_cbranch_vccnz .LBB85_21
.LBB85_14:                              ;   Parent Loop BB85_10 Depth=1
                                        ; =>  This Loop Header: Depth=2
                                        ;       Child Loop BB85_17 Depth 3
	s_and_saveexec_b64 s[28:29], s[0:1]
	s_cbranch_execz .LBB85_13
; %bb.15:                               ;   in Loop: Header=BB85_14 Depth=2
	s_lshl_b64 s[30:31], s[26:27], 2
	s_add_u32 s30, s12, s30
	s_addc_u32 s31, s13, s31
	s_load_dword s30, s[30:31], 0x0
	s_mul_i32 s31, s33, s26
	s_mul_i32 s34, s36, s27
	v_mov_b32_e32 v12, s26
	s_add_i32 s34, s34, s31
	s_waitcnt lgkmcnt(0)
	s_sub_i32 s35, s30, s16
	v_mad_u64_u32 v[12:13], s[30:31], s36, v12, v[6:7]
	v_add_u32_e32 v13, s34, v13
	s_mul_i32 s41, s35, s17
	s_mov_b64 s[30:31], 0
	v_mov_b32_e32 v20, v19
	v_pk_mov_b32 v[14:15], v[0:1], v[0:1] op_sel:[0,1]
	s_branch .LBB85_17
.LBB85_16:                              ;   in Loop: Header=BB85_17 Depth=3
	v_lshlrev_b64 v[16:17], 2, v[16:17]
	v_mov_b32_e32 v21, s15
	v_add_co_u32_e32 v16, vcc, s14, v16
	v_addc_co_u32_e32 v17, vcc, v21, v17, vcc
	global_load_dword v21, v[16:17], off
	v_add_u32_e32 v16, s41, v14
	v_ashrrev_i32_e32 v17, 31, v16
	v_lshlrev_b64 v[16:17], 3, v[16:17]
	v_mov_b32_e32 v22, s19
	v_add_co_u32_e32 v16, vcc, s18, v16
	v_addc_co_u32_e32 v17, vcc, v22, v17, vcc
	global_load_dwordx2 v[16:17], v[16:17], off
	v_add_co_u32_e32 v14, vcc, 16, v14
	v_addc_co_u32_e32 v15, vcc, 0, v15, vcc
	v_cmp_le_i32_e32 vcc, s17, v14
	s_or_b64 s[30:31], vcc, s[30:31]
	v_add_u32_e32 v20, s40, v20
	s_waitcnt vmcnt(1)
	v_cvt_f64_f32_e32 v[22:23], v21
	s_waitcnt vmcnt(0)
	v_fmac_f64_e32 v[8:9], v[22:23], v[16:17]
	s_andn2_b64 exec, exec, s[30:31]
	s_cbranch_execz .LBB85_12
.LBB85_17:                              ;   Parent Loop BB85_10 Depth=1
                                        ;     Parent Loop BB85_14 Depth=2
                                        ; =>    This Inner Loop Header: Depth=3
	s_and_b64 vcc, exec, s[24:25]
	s_cbranch_vccz .LBB85_19
; %bb.18:                               ;   in Loop: Header=BB85_17 Depth=3
	v_ashrrev_i32_e32 v17, 31, v20
	v_add_co_u32_e32 v16, vcc, v12, v20
	v_addc_co_u32_e32 v17, vcc, v13, v17, vcc
	s_cbranch_execnz .LBB85_16
	s_branch .LBB85_20
.LBB85_19:                              ;   in Loop: Header=BB85_17 Depth=3
                                        ; implicit-def: $vgpr16_vgpr17
.LBB85_20:                              ;   in Loop: Header=BB85_17 Depth=3
	v_add_co_u32_e32 v16, vcc, v10, v14
	v_addc_co_u32_e32 v17, vcc, v11, v15, vcc
	s_branch .LBB85_16
.LBB85_21:                              ;   in Loop: Header=BB85_10 Depth=1
	s_nop 0
	v_mov_b32_dpp v10, v8 row_shr:1 row_mask:0xf bank_mask:0xf
	v_mov_b32_dpp v11, v9 row_shr:1 row_mask:0xf bank_mask:0xf
	v_add_f64 v[8:9], v[8:9], v[10:11]
	s_nop 1
	v_mov_b32_dpp v10, v8 row_shr:2 row_mask:0xf bank_mask:0xf
	v_mov_b32_dpp v11, v9 row_shr:2 row_mask:0xf bank_mask:0xf
	v_add_f64 v[8:9], v[8:9], v[10:11]
	;; [unrolled: 4-line block ×3, first 2 shown]
	s_nop 1
	v_mov_b32_dpp v10, v8 row_shr:8 row_mask:0xf bank_mask:0xc
	v_mov_b32_dpp v11, v9 row_shr:8 row_mask:0xf bank_mask:0xc
	s_and_saveexec_b64 s[26:27], s[2:3]
	s_cbranch_execz .LBB85_9
; %bb.22:                               ;   in Loop: Header=BB85_10 Depth=1
	v_add_f64 v[8:9], v[8:9], v[10:11]
	v_add_u32_e32 v10, s37, v6
	v_mul_f64 v[8:9], v[2:3], v[8:9]
	v_ashrrev_i32_e32 v11, 31, v10
	s_and_saveexec_b64 s[28:29], s[4:5]
	s_xor_b64 s[28:29], exec, s[28:29]
	s_cbranch_execz .LBB85_24
; %bb.23:                               ;   in Loop: Header=BB85_10 Depth=1
	v_lshlrev_b64 v[10:11], 3, v[10:11]
	v_mov_b32_e32 v7, s9
	v_add_co_u32_e32 v10, vcc, s8, v10
	v_addc_co_u32_e32 v11, vcc, v7, v11, vcc
	global_store_dwordx2 v[10:11], v[8:9], off
                                        ; implicit-def: $vgpr10
                                        ; implicit-def: $vgpr8_vgpr9
.LBB85_24:                              ;   in Loop: Header=BB85_10 Depth=1
	s_andn2_saveexec_b64 s[28:29], s[28:29]
	s_cbranch_execz .LBB85_9
; %bb.25:                               ;   in Loop: Header=BB85_10 Depth=1
	v_lshlrev_b64 v[10:11], 3, v[10:11]
	v_mov_b32_e32 v7, s9
	v_add_co_u32_e32 v10, vcc, s8, v10
	v_addc_co_u32_e32 v11, vcc, v7, v11, vcc
	global_load_dwordx2 v[12:13], v[10:11], off
	s_waitcnt vmcnt(0)
	v_fmac_f64_e32 v[8:9], v[4:5], v[12:13]
	global_store_dwordx2 v[10:11], v[8:9], off
	s_branch .LBB85_9
.LBB85_26:
	s_endpgm
	.section	.rodata,"a",@progbits
	.p2align	6, 0x0
	.amdhsa_kernel _ZN9rocsparseL22bsrxmvn_general_kernelILj256ELj16EdlifddEEv20rocsparse_direction_NS_24const_host_device_scalarIT1_EET3_PKS5_PKT2_SA_S7_PKT4_S5_PKT5_S4_PT6_21rocsparse_index_base_b
		.amdhsa_group_segment_fixed_size 0
		.amdhsa_private_segment_fixed_size 0
		.amdhsa_kernarg_size 104
		.amdhsa_user_sgpr_count 6
		.amdhsa_user_sgpr_private_segment_buffer 1
		.amdhsa_user_sgpr_dispatch_ptr 0
		.amdhsa_user_sgpr_queue_ptr 0
		.amdhsa_user_sgpr_kernarg_segment_ptr 1
		.amdhsa_user_sgpr_dispatch_id 0
		.amdhsa_user_sgpr_flat_scratch_init 0
		.amdhsa_user_sgpr_kernarg_preload_length 0
		.amdhsa_user_sgpr_kernarg_preload_offset 0
		.amdhsa_user_sgpr_private_segment_size 0
		.amdhsa_uses_dynamic_stack 0
		.amdhsa_system_sgpr_private_segment_wavefront_offset 0
		.amdhsa_system_sgpr_workgroup_id_x 1
		.amdhsa_system_sgpr_workgroup_id_y 0
		.amdhsa_system_sgpr_workgroup_id_z 0
		.amdhsa_system_sgpr_workgroup_info 0
		.amdhsa_system_vgpr_workitem_id 0
		.amdhsa_next_free_vgpr 24
		.amdhsa_next_free_sgpr 42
		.amdhsa_accum_offset 24
		.amdhsa_reserve_vcc 1
		.amdhsa_reserve_flat_scratch 0
		.amdhsa_float_round_mode_32 0
		.amdhsa_float_round_mode_16_64 0
		.amdhsa_float_denorm_mode_32 3
		.amdhsa_float_denorm_mode_16_64 3
		.amdhsa_dx10_clamp 1
		.amdhsa_ieee_mode 1
		.amdhsa_fp16_overflow 0
		.amdhsa_tg_split 0
		.amdhsa_exception_fp_ieee_invalid_op 0
		.amdhsa_exception_fp_denorm_src 0
		.amdhsa_exception_fp_ieee_div_zero 0
		.amdhsa_exception_fp_ieee_overflow 0
		.amdhsa_exception_fp_ieee_underflow 0
		.amdhsa_exception_fp_ieee_inexact 0
		.amdhsa_exception_int_div_zero 0
	.end_amdhsa_kernel
	.section	.text._ZN9rocsparseL22bsrxmvn_general_kernelILj256ELj16EdlifddEEv20rocsparse_direction_NS_24const_host_device_scalarIT1_EET3_PKS5_PKT2_SA_S7_PKT4_S5_PKT5_S4_PT6_21rocsparse_index_base_b,"axG",@progbits,_ZN9rocsparseL22bsrxmvn_general_kernelILj256ELj16EdlifddEEv20rocsparse_direction_NS_24const_host_device_scalarIT1_EET3_PKS5_PKT2_SA_S7_PKT4_S5_PKT5_S4_PT6_21rocsparse_index_base_b,comdat
.Lfunc_end85:
	.size	_ZN9rocsparseL22bsrxmvn_general_kernelILj256ELj16EdlifddEEv20rocsparse_direction_NS_24const_host_device_scalarIT1_EET3_PKS5_PKT2_SA_S7_PKT4_S5_PKT5_S4_PT6_21rocsparse_index_base_b, .Lfunc_end85-_ZN9rocsparseL22bsrxmvn_general_kernelILj256ELj16EdlifddEEv20rocsparse_direction_NS_24const_host_device_scalarIT1_EET3_PKS5_PKT2_SA_S7_PKT4_S5_PKT5_S4_PT6_21rocsparse_index_base_b
                                        ; -- End function
	.section	.AMDGPU.csdata,"",@progbits
; Kernel info:
; codeLenInByte = 1060
; NumSgprs: 46
; NumVgprs: 24
; NumAgprs: 0
; TotalNumVgprs: 24
; ScratchSize: 0
; MemoryBound: 0
; FloatMode: 240
; IeeeMode: 1
; LDSByteSize: 0 bytes/workgroup (compile time only)
; SGPRBlocks: 5
; VGPRBlocks: 2
; NumSGPRsForWavesPerEU: 46
; NumVGPRsForWavesPerEU: 24
; AccumOffset: 24
; Occupancy: 8
; WaveLimiterHint : 1
; COMPUTE_PGM_RSRC2:SCRATCH_EN: 0
; COMPUTE_PGM_RSRC2:USER_SGPR: 6
; COMPUTE_PGM_RSRC2:TRAP_HANDLER: 0
; COMPUTE_PGM_RSRC2:TGID_X_EN: 1
; COMPUTE_PGM_RSRC2:TGID_Y_EN: 0
; COMPUTE_PGM_RSRC2:TGID_Z_EN: 0
; COMPUTE_PGM_RSRC2:TIDIG_COMP_CNT: 0
; COMPUTE_PGM_RSRC3_GFX90A:ACCUM_OFFSET: 5
; COMPUTE_PGM_RSRC3_GFX90A:TG_SPLIT: 0
	.section	.text._ZN9rocsparseL22bsrxmvn_general_kernelILj1024ELj32EdlifddEEv20rocsparse_direction_NS_24const_host_device_scalarIT1_EET3_PKS5_PKT2_SA_S7_PKT4_S5_PKT5_S4_PT6_21rocsparse_index_base_b,"axG",@progbits,_ZN9rocsparseL22bsrxmvn_general_kernelILj1024ELj32EdlifddEEv20rocsparse_direction_NS_24const_host_device_scalarIT1_EET3_PKS5_PKT2_SA_S7_PKT4_S5_PKT5_S4_PT6_21rocsparse_index_base_b,comdat
	.globl	_ZN9rocsparseL22bsrxmvn_general_kernelILj1024ELj32EdlifddEEv20rocsparse_direction_NS_24const_host_device_scalarIT1_EET3_PKS5_PKT2_SA_S7_PKT4_S5_PKT5_S4_PT6_21rocsparse_index_base_b ; -- Begin function _ZN9rocsparseL22bsrxmvn_general_kernelILj1024ELj32EdlifddEEv20rocsparse_direction_NS_24const_host_device_scalarIT1_EET3_PKS5_PKT2_SA_S7_PKT4_S5_PKT5_S4_PT6_21rocsparse_index_base_b
	.p2align	8
	.type	_ZN9rocsparseL22bsrxmvn_general_kernelILj1024ELj32EdlifddEEv20rocsparse_direction_NS_24const_host_device_scalarIT1_EET3_PKS5_PKT2_SA_S7_PKT4_S5_PKT5_S4_PT6_21rocsparse_index_base_b,@function
_ZN9rocsparseL22bsrxmvn_general_kernelILj1024ELj32EdlifddEEv20rocsparse_direction_NS_24const_host_device_scalarIT1_EET3_PKS5_PKT2_SA_S7_PKT4_S5_PKT5_S4_PT6_21rocsparse_index_base_b: ; @_ZN9rocsparseL22bsrxmvn_general_kernelILj1024ELj32EdlifddEEv20rocsparse_direction_NS_24const_host_device_scalarIT1_EET3_PKS5_PKT2_SA_S7_PKT4_S5_PKT5_S4_PT6_21rocsparse_index_base_b
; %bb.0:
	s_load_dwordx2 s[16:17], s[4:5], 0x60
	s_load_dwordx2 s[8:9], s[4:5], 0x8
	;; [unrolled: 1-line block ×3, first 2 shown]
	s_waitcnt lgkmcnt(0)
	s_bitcmp1_b32 s17, 0
	s_cselect_b64 s[10:11], -1, 0
	s_xor_b64 s[2:3], s[10:11], -1
	s_and_b64 vcc, exec, s[10:11]
	v_pk_mov_b32 v[2:3], s[8:9], s[8:9] op_sel:[0,1]
	s_cbranch_vccnz .LBB86_2
; %bb.1:
	v_pk_mov_b32 v[2:3], s[8:9], s[8:9] op_sel:[0,1]
	flat_load_dwordx2 v[2:3], v[2:3]
.LBB86_2:
	s_andn2_b64 vcc, exec, s[2:3]
	v_pk_mov_b32 v[4:5], s[0:1], s[0:1] op_sel:[0,1]
	s_cbranch_vccnz .LBB86_4
; %bb.3:
	v_pk_mov_b32 v[4:5], s[0:1], s[0:1] op_sel:[0,1]
	flat_load_dwordx2 v[4:5], v[4:5]
.LBB86_4:
	s_waitcnt vmcnt(0) lgkmcnt(0)
	v_cmp_neq_f64_e32 vcc, 0, v[2:3]
	v_cmp_neq_f64_e64 s[0:1], 1.0, v[4:5]
	s_or_b64 s[0:1], vcc, s[0:1]
	s_and_saveexec_b64 s[2:3], s[0:1]
	s_cbranch_execz .LBB86_26
; %bb.5:
	s_load_dwordx2 s[0:1], s[4:5], 0x18
	s_waitcnt lgkmcnt(0)
	s_cmp_eq_u64 s[0:1], 0
	s_cbranch_scc1 .LBB86_7
; %bb.6:
	s_ashr_i32 s7, s6, 31
	s_lshl_b64 s[2:3], s[6:7], 2
	s_add_u32 s0, s0, s2
	s_addc_u32 s1, s1, s3
	s_load_dword s0, s[0:1], 0x0
	s_waitcnt lgkmcnt(0)
	s_sub_i32 s6, s0, s16
.LBB86_7:
	s_load_dword s17, s[4:5], 0x40
	v_lshrrev_b32_e32 v6, 5, v0
	s_waitcnt lgkmcnt(0)
	v_cmp_gt_i32_e32 vcc, s17, v6
	s_and_b64 exec, exec, vcc
	s_cbranch_execz .LBB86_26
; %bb.8:
	s_load_dwordx8 s[8:15], s[4:5], 0x20
	s_ashr_i32 s7, s6, 31
	s_lshl_b64 s[0:1], s[6:7], 3
	s_mul_hi_u32 s33, s17, s17
	s_mul_i32 s36, s17, s17
	s_waitcnt lgkmcnt(0)
	s_add_u32 s2, s8, s0
	s_addc_u32 s3, s9, s1
	s_load_dwordx2 s[26:27], s[2:3], 0x0
	s_load_dwordx2 s[8:9], s[4:5], 0x58
	;; [unrolled: 1-line block ×3, first 2 shown]
	s_mul_i32 s37, s6, s17
	v_and_b32_e32 v0, 31, v0
	s_waitcnt lgkmcnt(0)
	s_sub_u32 s22, s26, s16
	s_subb_u32 s23, s27, 0
	s_add_u32 s2, s2, 8
	s_addc_u32 s3, s3, 0
	s_add_u32 s0, s10, s0
	s_addc_u32 s1, s11, s1
	s_cmp_eq_u64 s[10:11], 0
	s_cselect_b32 s1, s3, s1
	s_cselect_b32 s0, s2, s0
	s_load_dwordx2 s[2:3], s[0:1], 0x0
	s_load_dword s7, s[4:5], 0x0
	s_mul_i32 s6, s22, s33
	v_mov_b32_e32 v7, 0
	s_mov_b64 s[20:21], 0
	s_waitcnt lgkmcnt(0)
	s_sub_u32 s10, s2, s16
	v_pk_mov_b32 v[8:9], s[2:3], s[2:3] op_sel:[0,1]
	s_subb_u32 s11, s3, 0
	s_cmp_lg_u32 s7, 0
	s_mul_hi_u32 s7, s22, s36
	v_cmp_lt_i64_e32 vcc, s[26:27], v[8:9]
	s_cselect_b64 s[24:25], -1, 0
	s_add_i32 s6, s7, s6
	s_mul_i32 s7, s23, s36
	v_cndmask_b32_e64 v8, 0, 1, vcc
	v_cmp_gt_u32_e64 s[0:1], s17, v0
	v_cmp_eq_u32_e64 s[2:3], 31, v0
	v_cmp_eq_f64_e64 s[4:5], 0, v[4:5]
	s_add_i32 s38, s6, s7
	s_mul_i32 s39, s22, s36
	v_mul_lo_u32 v18, s17, v6
	s_lshl_b32 s40, s17, 5
	v_mov_b32_e32 v1, v7
	v_mul_lo_u32 v19, s17, v0
	v_cmp_ne_u32_e64 s[6:7], 1, v8
	s_branch .LBB86_10
.LBB86_9:                               ;   in Loop: Header=BB86_10 Depth=1
	s_or_b64 exec, exec, s[26:27]
	v_add_u32_e32 v6, 32, v6
	v_cmp_le_i32_e32 vcc, s17, v6
	s_or_b64 s[20:21], vcc, s[20:21]
	v_add_u32_e32 v18, s40, v18
	s_andn2_b64 exec, exec, s[20:21]
	s_cbranch_execz .LBB86_26
.LBB86_10:                              ; =>This Loop Header: Depth=1
                                        ;     Child Loop BB86_14 Depth 2
                                        ;       Child Loop BB86_17 Depth 3
	s_and_b64 vcc, exec, s[6:7]
	v_pk_mov_b32 v[8:9], 0, 0
	s_cbranch_vccnz .LBB86_21
; %bb.11:                               ;   in Loop: Header=BB86_10 Depth=1
	v_ashrrev_i32_e32 v8, 31, v18
	v_mov_b32_e32 v9, s38
	v_add_co_u32_e32 v10, vcc, s39, v18
	v_addc_co_u32_e32 v11, vcc, v9, v8, vcc
	v_pk_mov_b32 v[8:9], 0, 0
	s_mov_b64 s[26:27], s[22:23]
	s_branch .LBB86_14
.LBB86_12:                              ;   in Loop: Header=BB86_14 Depth=2
	s_or_b64 exec, exec, s[30:31]
.LBB86_13:                              ;   in Loop: Header=BB86_14 Depth=2
	s_or_b64 exec, exec, s[28:29]
	s_add_u32 s26, s26, 1
	v_mov_b32_e32 v12, s33
	v_add_co_u32_e32 v10, vcc, s36, v10
	s_addc_u32 s27, s27, 0
	v_addc_co_u32_e32 v11, vcc, v11, v12, vcc
	v_pk_mov_b32 v[12:13], s[10:11], s[10:11] op_sel:[0,1]
	v_cmp_ge_i64_e32 vcc, s[26:27], v[12:13]
	s_cbranch_vccnz .LBB86_21
.LBB86_14:                              ;   Parent Loop BB86_10 Depth=1
                                        ; =>  This Loop Header: Depth=2
                                        ;       Child Loop BB86_17 Depth 3
	s_and_saveexec_b64 s[28:29], s[0:1]
	s_cbranch_execz .LBB86_13
; %bb.15:                               ;   in Loop: Header=BB86_14 Depth=2
	s_lshl_b64 s[30:31], s[26:27], 2
	s_add_u32 s30, s12, s30
	s_addc_u32 s31, s13, s31
	s_load_dword s30, s[30:31], 0x0
	s_mul_i32 s31, s33, s26
	s_mul_i32 s34, s36, s27
	v_mov_b32_e32 v12, s26
	s_add_i32 s34, s34, s31
	s_waitcnt lgkmcnt(0)
	s_sub_i32 s35, s30, s16
	v_mad_u64_u32 v[12:13], s[30:31], s36, v12, v[6:7]
	v_add_u32_e32 v13, s34, v13
	s_mul_i32 s41, s35, s17
	s_mov_b64 s[30:31], 0
	v_mov_b32_e32 v20, v19
	v_pk_mov_b32 v[14:15], v[0:1], v[0:1] op_sel:[0,1]
	s_branch .LBB86_17
.LBB86_16:                              ;   in Loop: Header=BB86_17 Depth=3
	v_lshlrev_b64 v[16:17], 2, v[16:17]
	v_mov_b32_e32 v21, s15
	v_add_co_u32_e32 v16, vcc, s14, v16
	v_addc_co_u32_e32 v17, vcc, v21, v17, vcc
	global_load_dword v21, v[16:17], off
	v_add_u32_e32 v16, s41, v14
	v_ashrrev_i32_e32 v17, 31, v16
	v_lshlrev_b64 v[16:17], 3, v[16:17]
	v_mov_b32_e32 v22, s19
	v_add_co_u32_e32 v16, vcc, s18, v16
	v_addc_co_u32_e32 v17, vcc, v22, v17, vcc
	global_load_dwordx2 v[16:17], v[16:17], off
	v_add_co_u32_e32 v14, vcc, 32, v14
	v_addc_co_u32_e32 v15, vcc, 0, v15, vcc
	v_cmp_le_i32_e32 vcc, s17, v14
	s_or_b64 s[30:31], vcc, s[30:31]
	v_add_u32_e32 v20, s40, v20
	s_waitcnt vmcnt(1)
	v_cvt_f64_f32_e32 v[22:23], v21
	s_waitcnt vmcnt(0)
	v_fmac_f64_e32 v[8:9], v[22:23], v[16:17]
	s_andn2_b64 exec, exec, s[30:31]
	s_cbranch_execz .LBB86_12
.LBB86_17:                              ;   Parent Loop BB86_10 Depth=1
                                        ;     Parent Loop BB86_14 Depth=2
                                        ; =>    This Inner Loop Header: Depth=3
	s_and_b64 vcc, exec, s[24:25]
	s_cbranch_vccz .LBB86_19
; %bb.18:                               ;   in Loop: Header=BB86_17 Depth=3
	v_ashrrev_i32_e32 v17, 31, v20
	v_add_co_u32_e32 v16, vcc, v12, v20
	v_addc_co_u32_e32 v17, vcc, v13, v17, vcc
	s_cbranch_execnz .LBB86_16
	s_branch .LBB86_20
.LBB86_19:                              ;   in Loop: Header=BB86_17 Depth=3
                                        ; implicit-def: $vgpr16_vgpr17
.LBB86_20:                              ;   in Loop: Header=BB86_17 Depth=3
	v_add_co_u32_e32 v16, vcc, v10, v14
	v_addc_co_u32_e32 v17, vcc, v11, v15, vcc
	s_branch .LBB86_16
.LBB86_21:                              ;   in Loop: Header=BB86_10 Depth=1
	s_nop 0
	v_mov_b32_dpp v10, v8 row_shr:1 row_mask:0xf bank_mask:0xf
	v_mov_b32_dpp v11, v9 row_shr:1 row_mask:0xf bank_mask:0xf
	v_add_f64 v[8:9], v[8:9], v[10:11]
	s_nop 1
	v_mov_b32_dpp v10, v8 row_shr:2 row_mask:0xf bank_mask:0xf
	v_mov_b32_dpp v11, v9 row_shr:2 row_mask:0xf bank_mask:0xf
	v_add_f64 v[8:9], v[8:9], v[10:11]
	;; [unrolled: 4-line block ×4, first 2 shown]
	s_nop 1
	v_mov_b32_dpp v10, v8 row_bcast:15 row_mask:0xa bank_mask:0xf
	v_mov_b32_dpp v11, v9 row_bcast:15 row_mask:0xa bank_mask:0xf
	s_and_saveexec_b64 s[26:27], s[2:3]
	s_cbranch_execz .LBB86_9
; %bb.22:                               ;   in Loop: Header=BB86_10 Depth=1
	v_add_f64 v[8:9], v[8:9], v[10:11]
	v_add_u32_e32 v10, s37, v6
	v_mul_f64 v[8:9], v[2:3], v[8:9]
	v_ashrrev_i32_e32 v11, 31, v10
	s_and_saveexec_b64 s[28:29], s[4:5]
	s_xor_b64 s[28:29], exec, s[28:29]
	s_cbranch_execz .LBB86_24
; %bb.23:                               ;   in Loop: Header=BB86_10 Depth=1
	v_lshlrev_b64 v[10:11], 3, v[10:11]
	v_mov_b32_e32 v12, s9
	v_add_co_u32_e32 v10, vcc, s8, v10
	v_addc_co_u32_e32 v11, vcc, v12, v11, vcc
	global_store_dwordx2 v[10:11], v[8:9], off
                                        ; implicit-def: $vgpr10
                                        ; implicit-def: $vgpr8_vgpr9
.LBB86_24:                              ;   in Loop: Header=BB86_10 Depth=1
	s_andn2_saveexec_b64 s[28:29], s[28:29]
	s_cbranch_execz .LBB86_9
; %bb.25:                               ;   in Loop: Header=BB86_10 Depth=1
	v_lshlrev_b64 v[10:11], 3, v[10:11]
	v_mov_b32_e32 v12, s9
	v_add_co_u32_e32 v10, vcc, s8, v10
	v_addc_co_u32_e32 v11, vcc, v12, v11, vcc
	global_load_dwordx2 v[12:13], v[10:11], off
	s_waitcnt vmcnt(0)
	v_fmac_f64_e32 v[8:9], v[4:5], v[12:13]
	global_store_dwordx2 v[10:11], v[8:9], off
	s_branch .LBB86_9
.LBB86_26:
	s_endpgm
	.section	.rodata,"a",@progbits
	.p2align	6, 0x0
	.amdhsa_kernel _ZN9rocsparseL22bsrxmvn_general_kernelILj1024ELj32EdlifddEEv20rocsparse_direction_NS_24const_host_device_scalarIT1_EET3_PKS5_PKT2_SA_S7_PKT4_S5_PKT5_S4_PT6_21rocsparse_index_base_b
		.amdhsa_group_segment_fixed_size 0
		.amdhsa_private_segment_fixed_size 0
		.amdhsa_kernarg_size 104
		.amdhsa_user_sgpr_count 6
		.amdhsa_user_sgpr_private_segment_buffer 1
		.amdhsa_user_sgpr_dispatch_ptr 0
		.amdhsa_user_sgpr_queue_ptr 0
		.amdhsa_user_sgpr_kernarg_segment_ptr 1
		.amdhsa_user_sgpr_dispatch_id 0
		.amdhsa_user_sgpr_flat_scratch_init 0
		.amdhsa_user_sgpr_kernarg_preload_length 0
		.amdhsa_user_sgpr_kernarg_preload_offset 0
		.amdhsa_user_sgpr_private_segment_size 0
		.amdhsa_uses_dynamic_stack 0
		.amdhsa_system_sgpr_private_segment_wavefront_offset 0
		.amdhsa_system_sgpr_workgroup_id_x 1
		.amdhsa_system_sgpr_workgroup_id_y 0
		.amdhsa_system_sgpr_workgroup_id_z 0
		.amdhsa_system_sgpr_workgroup_info 0
		.amdhsa_system_vgpr_workitem_id 0
		.amdhsa_next_free_vgpr 24
		.amdhsa_next_free_sgpr 42
		.amdhsa_accum_offset 24
		.amdhsa_reserve_vcc 1
		.amdhsa_reserve_flat_scratch 0
		.amdhsa_float_round_mode_32 0
		.amdhsa_float_round_mode_16_64 0
		.amdhsa_float_denorm_mode_32 3
		.amdhsa_float_denorm_mode_16_64 3
		.amdhsa_dx10_clamp 1
		.amdhsa_ieee_mode 1
		.amdhsa_fp16_overflow 0
		.amdhsa_tg_split 0
		.amdhsa_exception_fp_ieee_invalid_op 0
		.amdhsa_exception_fp_denorm_src 0
		.amdhsa_exception_fp_ieee_div_zero 0
		.amdhsa_exception_fp_ieee_overflow 0
		.amdhsa_exception_fp_ieee_underflow 0
		.amdhsa_exception_fp_ieee_inexact 0
		.amdhsa_exception_int_div_zero 0
	.end_amdhsa_kernel
	.section	.text._ZN9rocsparseL22bsrxmvn_general_kernelILj1024ELj32EdlifddEEv20rocsparse_direction_NS_24const_host_device_scalarIT1_EET3_PKS5_PKT2_SA_S7_PKT4_S5_PKT5_S4_PT6_21rocsparse_index_base_b,"axG",@progbits,_ZN9rocsparseL22bsrxmvn_general_kernelILj1024ELj32EdlifddEEv20rocsparse_direction_NS_24const_host_device_scalarIT1_EET3_PKS5_PKT2_SA_S7_PKT4_S5_PKT5_S4_PT6_21rocsparse_index_base_b,comdat
.Lfunc_end86:
	.size	_ZN9rocsparseL22bsrxmvn_general_kernelILj1024ELj32EdlifddEEv20rocsparse_direction_NS_24const_host_device_scalarIT1_EET3_PKS5_PKT2_SA_S7_PKT4_S5_PKT5_S4_PT6_21rocsparse_index_base_b, .Lfunc_end86-_ZN9rocsparseL22bsrxmvn_general_kernelILj1024ELj32EdlifddEEv20rocsparse_direction_NS_24const_host_device_scalarIT1_EET3_PKS5_PKT2_SA_S7_PKT4_S5_PKT5_S4_PT6_21rocsparse_index_base_b
                                        ; -- End function
	.section	.AMDGPU.csdata,"",@progbits
; Kernel info:
; codeLenInByte = 1088
; NumSgprs: 46
; NumVgprs: 24
; NumAgprs: 0
; TotalNumVgprs: 24
; ScratchSize: 0
; MemoryBound: 0
; FloatMode: 240
; IeeeMode: 1
; LDSByteSize: 0 bytes/workgroup (compile time only)
; SGPRBlocks: 5
; VGPRBlocks: 2
; NumSGPRsForWavesPerEU: 46
; NumVGPRsForWavesPerEU: 24
; AccumOffset: 24
; Occupancy: 8
; WaveLimiterHint : 1
; COMPUTE_PGM_RSRC2:SCRATCH_EN: 0
; COMPUTE_PGM_RSRC2:USER_SGPR: 6
; COMPUTE_PGM_RSRC2:TRAP_HANDLER: 0
; COMPUTE_PGM_RSRC2:TGID_X_EN: 1
; COMPUTE_PGM_RSRC2:TGID_Y_EN: 0
; COMPUTE_PGM_RSRC2:TGID_Z_EN: 0
; COMPUTE_PGM_RSRC2:TIDIG_COMP_CNT: 0
; COMPUTE_PGM_RSRC3_GFX90A:ACCUM_OFFSET: 5
; COMPUTE_PGM_RSRC3_GFX90A:TG_SPLIT: 0
	.section	.text._ZN9rocsparseL22bsrxmvn_general_kernelILj64ELj8EdllfddEEv20rocsparse_direction_NS_24const_host_device_scalarIT1_EET3_PKS5_PKT2_SA_S7_PKT4_S5_PKT5_S4_PT6_21rocsparse_index_base_b,"axG",@progbits,_ZN9rocsparseL22bsrxmvn_general_kernelILj64ELj8EdllfddEEv20rocsparse_direction_NS_24const_host_device_scalarIT1_EET3_PKS5_PKT2_SA_S7_PKT4_S5_PKT5_S4_PT6_21rocsparse_index_base_b,comdat
	.globl	_ZN9rocsparseL22bsrxmvn_general_kernelILj64ELj8EdllfddEEv20rocsparse_direction_NS_24const_host_device_scalarIT1_EET3_PKS5_PKT2_SA_S7_PKT4_S5_PKT5_S4_PT6_21rocsparse_index_base_b ; -- Begin function _ZN9rocsparseL22bsrxmvn_general_kernelILj64ELj8EdllfddEEv20rocsparse_direction_NS_24const_host_device_scalarIT1_EET3_PKS5_PKT2_SA_S7_PKT4_S5_PKT5_S4_PT6_21rocsparse_index_base_b
	.p2align	8
	.type	_ZN9rocsparseL22bsrxmvn_general_kernelILj64ELj8EdllfddEEv20rocsparse_direction_NS_24const_host_device_scalarIT1_EET3_PKS5_PKT2_SA_S7_PKT4_S5_PKT5_S4_PT6_21rocsparse_index_base_b,@function
_ZN9rocsparseL22bsrxmvn_general_kernelILj64ELj8EdllfddEEv20rocsparse_direction_NS_24const_host_device_scalarIT1_EET3_PKS5_PKT2_SA_S7_PKT4_S5_PKT5_S4_PT6_21rocsparse_index_base_b: ; @_ZN9rocsparseL22bsrxmvn_general_kernelILj64ELj8EdllfddEEv20rocsparse_direction_NS_24const_host_device_scalarIT1_EET3_PKS5_PKT2_SA_S7_PKT4_S5_PKT5_S4_PT6_21rocsparse_index_base_b
; %bb.0:
	s_load_dwordx2 s[16:17], s[4:5], 0x60
	s_load_dwordx2 s[8:9], s[4:5], 0x8
	;; [unrolled: 1-line block ×3, first 2 shown]
	s_waitcnt lgkmcnt(0)
	s_bitcmp1_b32 s17, 0
	s_cselect_b64 s[10:11], -1, 0
	s_xor_b64 s[2:3], s[10:11], -1
	s_and_b64 vcc, exec, s[10:11]
	v_pk_mov_b32 v[2:3], s[8:9], s[8:9] op_sel:[0,1]
	s_cbranch_vccnz .LBB87_2
; %bb.1:
	v_pk_mov_b32 v[2:3], s[8:9], s[8:9] op_sel:[0,1]
	flat_load_dwordx2 v[2:3], v[2:3]
.LBB87_2:
	s_andn2_b64 vcc, exec, s[2:3]
	v_pk_mov_b32 v[4:5], s[0:1], s[0:1] op_sel:[0,1]
	s_cbranch_vccnz .LBB87_4
; %bb.3:
	v_pk_mov_b32 v[4:5], s[0:1], s[0:1] op_sel:[0,1]
	flat_load_dwordx2 v[4:5], v[4:5]
.LBB87_4:
	s_waitcnt vmcnt(0) lgkmcnt(0)
	v_cmp_neq_f64_e32 vcc, 0, v[2:3]
	v_cmp_neq_f64_e64 s[0:1], 1.0, v[4:5]
	s_or_b64 s[0:1], vcc, s[0:1]
	s_and_saveexec_b64 s[2:3], s[0:1]
	s_cbranch_execz .LBB87_26
; %bb.5:
	s_load_dwordx2 s[0:1], s[4:5], 0x18
	s_mov_b32 s7, 0
	s_waitcnt lgkmcnt(0)
	s_cmp_eq_u64 s[0:1], 0
	s_cbranch_scc1 .LBB87_7
; %bb.6:
	s_lshl_b64 s[2:3], s[6:7], 3
	s_add_u32 s0, s0, s2
	s_addc_u32 s1, s1, s3
	s_load_dwordx2 s[0:1], s[0:1], 0x0
	s_waitcnt lgkmcnt(0)
	s_sub_u32 s6, s0, s16
	s_subb_u32 s7, s1, 0
.LBB87_7:
	s_load_dwordx2 s[18:19], s[4:5], 0x40
	v_lshrrev_b32_e32 v6, 3, v0
	v_mov_b32_e32 v7, 0
	s_waitcnt lgkmcnt(0)
	v_cmp_gt_i64_e32 vcc, s[18:19], v[6:7]
	s_and_b64 exec, exec, vcc
	s_cbranch_execz .LBB87_26
; %bb.8:
	s_load_dwordx8 s[8:15], s[4:5], 0x20
	s_lshl_b64 s[0:1], s[6:7], 3
	s_mul_hi_u32 s30, s6, s18
	s_mul_i32 s7, s7, s18
	v_and_b32_e32 v0, 7, v0
	s_waitcnt lgkmcnt(0)
	s_add_u32 s2, s8, s0
	s_addc_u32 s3, s9, s1
	s_load_dwordx2 s[26:27], s[2:3], 0x0
	s_load_dwordx2 s[24:25], s[4:5], 0x58
	;; [unrolled: 1-line block ×3, first 2 shown]
	v_lshlrev_b32_e32 v8, 3, v0
	v_mov_b32_e32 v1, v7
	s_waitcnt lgkmcnt(0)
	s_sub_u32 s20, s26, s16
	s_subb_u32 s21, s27, 0
	s_add_u32 s2, s2, 8
	s_addc_u32 s3, s3, 0
	s_add_u32 s0, s10, s0
	s_addc_u32 s1, s11, s1
	s_cmp_eq_u64 s[10:11], 0
	s_cselect_b32 s1, s3, s1
	s_cselect_b32 s0, s2, s0
	s_load_dwordx2 s[22:23], s[0:1], 0x0
	s_load_dword s17, s[4:5], 0x0
	v_mov_b32_e32 v10, s20
	v_add_co_u32_e32 v8, vcc, s28, v8
	s_waitcnt lgkmcnt(0)
	s_sub_u32 s10, s22, s16
	s_subb_u32 s11, s23, 0
	s_cmp_lg_u32 s17, 0
	s_mul_i32 s17, s6, s19
	v_pk_mov_b32 v[12:13], s[22:23], s[22:23] op_sel:[0,1]
	s_cselect_b64 s[22:23], -1, 0
	s_add_i32 s17, s30, s17
	s_add_i32 s7, s17, s7
	s_mul_i32 s6, s6, s18
	s_lshl_b64 s[6:7], s[6:7], 3
	s_add_u32 s17, s24, s6
	s_addc_u32 s33, s25, s7
	s_mul_i32 s6, s19, s20
	s_mul_i32 s7, s18, s21
	s_add_i32 s28, s7, s6
	v_mad_u64_u32 v[10:11], s[6:7], s18, v10, v[6:7]
	v_mov_b32_e32 v9, s29
	v_add_u32_e32 v11, s28, v11
	v_addc_co_u32_e32 v9, vcc, 0, v9, vcc
	v_mul_lo_u32 v14, s18, v11
	v_mul_lo_u32 v15, s19, v10
	v_mad_u64_u32 v[10:11], s[6:7], s18, v10, 0
	s_mul_i32 s6, s18, s19
	s_mul_hi_u32 s7, s18, s18
	v_cmp_lt_i64_e32 vcc, s[26:27], v[12:13]
	s_add_i32 s7, s7, s6
	v_cndmask_b32_e64 v12, 0, 1, vcc
	s_mov_b64 s[8:9], 0
	v_cmp_eq_f64_e64 s[0:1], 0, v[4:5]
	v_cmp_gt_u64_e64 s[2:3], s[18:19], v[0:1]
	v_cmp_eq_u32_e64 s[4:5], 7, v0
	s_lshl_b64 s[24:25], s[18:19], 3
	v_add3_u32 v11, v11, v14, v15
	s_add_i32 s36, s7, s6
	s_mul_i32 s37, s18, s18
	v_cmp_ne_u32_e64 s[6:7], 1, v12
	s_branch .LBB87_10
.LBB87_9:                               ;   in Loop: Header=BB87_10 Depth=1
	s_or_b64 exec, exec, s[26:27]
	v_add_co_u32_e32 v6, vcc, 8, v6
	v_addc_co_u32_e32 v7, vcc, 0, v7, vcc
	v_cmp_le_i64_e32 vcc, s[18:19], v[6:7]
	v_mov_b32_e32 v12, s25
	s_or_b64 s[8:9], vcc, s[8:9]
	v_add_co_u32_e32 v10, vcc, s24, v10
	v_addc_co_u32_e32 v11, vcc, v11, v12, vcc
	s_andn2_b64 exec, exec, s[8:9]
	s_cbranch_execz .LBB87_26
.LBB87_10:                              ; =>This Loop Header: Depth=1
                                        ;     Child Loop BB87_14 Depth 2
                                        ;       Child Loop BB87_17 Depth 3
	s_and_b64 vcc, exec, s[6:7]
	v_pk_mov_b32 v[12:13], 0, 0
	s_cbranch_vccnz .LBB87_21
; %bb.11:                               ;   in Loop: Header=BB87_10 Depth=1
	v_pk_mov_b32 v[12:13], 0, 0
	v_pk_mov_b32 v[14:15], v[10:11], v[10:11] op_sel:[0,1]
	s_mov_b64 s[26:27], s[20:21]
	s_branch .LBB87_14
.LBB87_12:                              ;   in Loop: Header=BB87_14 Depth=2
	s_or_b64 exec, exec, s[30:31]
.LBB87_13:                              ;   in Loop: Header=BB87_14 Depth=2
	s_or_b64 exec, exec, s[28:29]
	s_add_u32 s26, s26, 1
	v_mov_b32_e32 v16, s36
	v_add_co_u32_e32 v14, vcc, s37, v14
	s_addc_u32 s27, s27, 0
	v_addc_co_u32_e32 v15, vcc, v15, v16, vcc
	v_pk_mov_b32 v[16:17], s[10:11], s[10:11] op_sel:[0,1]
	v_cmp_ge_i64_e32 vcc, s[26:27], v[16:17]
	s_cbranch_vccnz .LBB87_21
.LBB87_14:                              ;   Parent Loop BB87_10 Depth=1
                                        ; =>  This Loop Header: Depth=2
                                        ;       Child Loop BB87_17 Depth 3
	s_and_saveexec_b64 s[28:29], s[2:3]
	s_cbranch_execz .LBB87_13
; %bb.15:                               ;   in Loop: Header=BB87_14 Depth=2
	s_lshl_b64 s[30:31], s[26:27], 3
	s_add_u32 s30, s12, s30
	s_addc_u32 s31, s13, s31
	s_load_dwordx2 s[30:31], s[30:31], 0x0
	s_mul_i32 s34, s26, s19
	s_mul_hi_u32 s35, s26, s18
	s_mul_i32 s38, s27, s18
	s_mul_i32 s39, s26, s18
	s_waitcnt lgkmcnt(0)
	s_sub_u32 s30, s30, s16
	s_subb_u32 s31, s31, 0
	s_add_i32 s34, s35, s34
	s_add_i32 s38, s34, s38
	s_mul_i32 s34, s25, s30
	s_mul_i32 s31, s24, s31
	v_mov_b32_e32 v16, s30
	s_add_i32 s34, s31, s34
	v_mad_u64_u32 v[16:17], s[30:31], s24, v16, v[8:9]
	v_add_u32_e32 v17, s34, v17
	s_mov_b64 s[30:31], 0
	v_pk_mov_b32 v[18:19], v[0:1], v[0:1] op_sel:[0,1]
	s_branch .LBB87_17
.LBB87_16:                              ;   in Loop: Header=BB87_17 Depth=3
	v_lshlrev_b64 v[20:21], 2, v[20:21]
	v_mov_b32_e32 v22, s15
	v_add_co_u32_e32 v20, vcc, s14, v20
	v_addc_co_u32_e32 v21, vcc, v22, v21, vcc
	global_load_dword v24, v[20:21], off
	global_load_dwordx2 v[22:23], v[16:17], off
	v_add_co_u32_e32 v18, vcc, 8, v18
	v_addc_co_u32_e32 v19, vcc, 0, v19, vcc
	v_cmp_le_i64_e32 vcc, s[18:19], v[18:19]
	s_or_b64 s[30:31], vcc, s[30:31]
	v_add_co_u32_e32 v16, vcc, 64, v16
	v_addc_co_u32_e32 v17, vcc, 0, v17, vcc
	s_waitcnt vmcnt(1)
	v_cvt_f64_f32_e32 v[20:21], v24
	s_waitcnt vmcnt(0)
	v_fmac_f64_e32 v[12:13], v[20:21], v[22:23]
	s_andn2_b64 exec, exec, s[30:31]
	s_cbranch_execz .LBB87_12
.LBB87_17:                              ;   Parent Loop BB87_10 Depth=1
                                        ;     Parent Loop BB87_14 Depth=2
                                        ; =>    This Inner Loop Header: Depth=3
	s_and_b64 vcc, exec, s[22:23]
	s_cbranch_vccz .LBB87_19
; %bb.18:                               ;   in Loop: Header=BB87_17 Depth=3
	v_mov_b32_e32 v20, s38
	v_add_co_u32_e32 v21, vcc, s39, v18
	v_addc_co_u32_e32 v20, vcc, v19, v20, vcc
	v_mul_lo_u32 v22, v21, s19
	v_mul_lo_u32 v23, v20, s18
	v_mad_u64_u32 v[20:21], s[34:35], v21, s18, v[6:7]
	v_add3_u32 v21, v23, v21, v22
	s_cbranch_execnz .LBB87_16
	s_branch .LBB87_20
.LBB87_19:                              ;   in Loop: Header=BB87_17 Depth=3
                                        ; implicit-def: $vgpr20_vgpr21
.LBB87_20:                              ;   in Loop: Header=BB87_17 Depth=3
	v_add_co_u32_e32 v20, vcc, v14, v18
	v_addc_co_u32_e32 v21, vcc, v15, v19, vcc
	s_branch .LBB87_16
.LBB87_21:                              ;   in Loop: Header=BB87_10 Depth=1
	s_nop 0
	v_mov_b32_dpp v14, v12 row_shr:1 row_mask:0xf bank_mask:0xf
	v_mov_b32_dpp v15, v13 row_shr:1 row_mask:0xf bank_mask:0xf
	v_add_f64 v[12:13], v[12:13], v[14:15]
	s_nop 1
	v_mov_b32_dpp v14, v12 row_shr:2 row_mask:0xf bank_mask:0xf
	v_mov_b32_dpp v15, v13 row_shr:2 row_mask:0xf bank_mask:0xf
	v_add_f64 v[12:13], v[12:13], v[14:15]
	s_nop 1
	v_mov_b32_dpp v14, v12 row_shr:4 row_mask:0xf bank_mask:0xe
	v_mov_b32_dpp v15, v13 row_shr:4 row_mask:0xf bank_mask:0xe
	s_and_saveexec_b64 s[26:27], s[4:5]
	s_cbranch_execz .LBB87_9
; %bb.22:                               ;   in Loop: Header=BB87_10 Depth=1
	v_add_f64 v[12:13], v[12:13], v[14:15]
	v_mul_f64 v[12:13], v[2:3], v[12:13]
	v_lshlrev_b64 v[14:15], 3, v[6:7]
	s_and_saveexec_b64 s[28:29], s[0:1]
	s_xor_b64 s[28:29], exec, s[28:29]
	s_cbranch_execz .LBB87_24
; %bb.23:                               ;   in Loop: Header=BB87_10 Depth=1
	v_mov_b32_e32 v16, s33
	v_add_co_u32_e32 v14, vcc, s17, v14
	v_addc_co_u32_e32 v15, vcc, v16, v15, vcc
	global_store_dwordx2 v[14:15], v[12:13], off
                                        ; implicit-def: $vgpr14_vgpr15
                                        ; implicit-def: $vgpr12_vgpr13
.LBB87_24:                              ;   in Loop: Header=BB87_10 Depth=1
	s_andn2_saveexec_b64 s[28:29], s[28:29]
	s_cbranch_execz .LBB87_9
; %bb.25:                               ;   in Loop: Header=BB87_10 Depth=1
	v_mov_b32_e32 v16, s33
	v_add_co_u32_e32 v14, vcc, s17, v14
	v_addc_co_u32_e32 v15, vcc, v16, v15, vcc
	global_load_dwordx2 v[16:17], v[14:15], off
	s_waitcnt vmcnt(0)
	v_fmac_f64_e32 v[12:13], v[4:5], v[16:17]
	global_store_dwordx2 v[14:15], v[12:13], off
	s_branch .LBB87_9
.LBB87_26:
	s_endpgm
	.section	.rodata,"a",@progbits
	.p2align	6, 0x0
	.amdhsa_kernel _ZN9rocsparseL22bsrxmvn_general_kernelILj64ELj8EdllfddEEv20rocsparse_direction_NS_24const_host_device_scalarIT1_EET3_PKS5_PKT2_SA_S7_PKT4_S5_PKT5_S4_PT6_21rocsparse_index_base_b
		.amdhsa_group_segment_fixed_size 0
		.amdhsa_private_segment_fixed_size 0
		.amdhsa_kernarg_size 104
		.amdhsa_user_sgpr_count 6
		.amdhsa_user_sgpr_private_segment_buffer 1
		.amdhsa_user_sgpr_dispatch_ptr 0
		.amdhsa_user_sgpr_queue_ptr 0
		.amdhsa_user_sgpr_kernarg_segment_ptr 1
		.amdhsa_user_sgpr_dispatch_id 0
		.amdhsa_user_sgpr_flat_scratch_init 0
		.amdhsa_user_sgpr_kernarg_preload_length 0
		.amdhsa_user_sgpr_kernarg_preload_offset 0
		.amdhsa_user_sgpr_private_segment_size 0
		.amdhsa_uses_dynamic_stack 0
		.amdhsa_system_sgpr_private_segment_wavefront_offset 0
		.amdhsa_system_sgpr_workgroup_id_x 1
		.amdhsa_system_sgpr_workgroup_id_y 0
		.amdhsa_system_sgpr_workgroup_id_z 0
		.amdhsa_system_sgpr_workgroup_info 0
		.amdhsa_system_vgpr_workitem_id 0
		.amdhsa_next_free_vgpr 25
		.amdhsa_next_free_sgpr 40
		.amdhsa_accum_offset 28
		.amdhsa_reserve_vcc 1
		.amdhsa_reserve_flat_scratch 0
		.amdhsa_float_round_mode_32 0
		.amdhsa_float_round_mode_16_64 0
		.amdhsa_float_denorm_mode_32 3
		.amdhsa_float_denorm_mode_16_64 3
		.amdhsa_dx10_clamp 1
		.amdhsa_ieee_mode 1
		.amdhsa_fp16_overflow 0
		.amdhsa_tg_split 0
		.amdhsa_exception_fp_ieee_invalid_op 0
		.amdhsa_exception_fp_denorm_src 0
		.amdhsa_exception_fp_ieee_div_zero 0
		.amdhsa_exception_fp_ieee_overflow 0
		.amdhsa_exception_fp_ieee_underflow 0
		.amdhsa_exception_fp_ieee_inexact 0
		.amdhsa_exception_int_div_zero 0
	.end_amdhsa_kernel
	.section	.text._ZN9rocsparseL22bsrxmvn_general_kernelILj64ELj8EdllfddEEv20rocsparse_direction_NS_24const_host_device_scalarIT1_EET3_PKS5_PKT2_SA_S7_PKT4_S5_PKT5_S4_PT6_21rocsparse_index_base_b,"axG",@progbits,_ZN9rocsparseL22bsrxmvn_general_kernelILj64ELj8EdllfddEEv20rocsparse_direction_NS_24const_host_device_scalarIT1_EET3_PKS5_PKT2_SA_S7_PKT4_S5_PKT5_S4_PT6_21rocsparse_index_base_b,comdat
.Lfunc_end87:
	.size	_ZN9rocsparseL22bsrxmvn_general_kernelILj64ELj8EdllfddEEv20rocsparse_direction_NS_24const_host_device_scalarIT1_EET3_PKS5_PKT2_SA_S7_PKT4_S5_PKT5_S4_PT6_21rocsparse_index_base_b, .Lfunc_end87-_ZN9rocsparseL22bsrxmvn_general_kernelILj64ELj8EdllfddEEv20rocsparse_direction_NS_24const_host_device_scalarIT1_EET3_PKS5_PKT2_SA_S7_PKT4_S5_PKT5_S4_PT6_21rocsparse_index_base_b
                                        ; -- End function
	.section	.AMDGPU.csdata,"",@progbits
; Kernel info:
; codeLenInByte = 1128
; NumSgprs: 44
; NumVgprs: 25
; NumAgprs: 0
; TotalNumVgprs: 25
; ScratchSize: 0
; MemoryBound: 0
; FloatMode: 240
; IeeeMode: 1
; LDSByteSize: 0 bytes/workgroup (compile time only)
; SGPRBlocks: 5
; VGPRBlocks: 3
; NumSGPRsForWavesPerEU: 44
; NumVGPRsForWavesPerEU: 25
; AccumOffset: 28
; Occupancy: 8
; WaveLimiterHint : 1
; COMPUTE_PGM_RSRC2:SCRATCH_EN: 0
; COMPUTE_PGM_RSRC2:USER_SGPR: 6
; COMPUTE_PGM_RSRC2:TRAP_HANDLER: 0
; COMPUTE_PGM_RSRC2:TGID_X_EN: 1
; COMPUTE_PGM_RSRC2:TGID_Y_EN: 0
; COMPUTE_PGM_RSRC2:TGID_Z_EN: 0
; COMPUTE_PGM_RSRC2:TIDIG_COMP_CNT: 0
; COMPUTE_PGM_RSRC3_GFX90A:ACCUM_OFFSET: 6
; COMPUTE_PGM_RSRC3_GFX90A:TG_SPLIT: 0
	.section	.text._ZN9rocsparseL22bsrxmvn_general_kernelILj256ELj16EdllfddEEv20rocsparse_direction_NS_24const_host_device_scalarIT1_EET3_PKS5_PKT2_SA_S7_PKT4_S5_PKT5_S4_PT6_21rocsparse_index_base_b,"axG",@progbits,_ZN9rocsparseL22bsrxmvn_general_kernelILj256ELj16EdllfddEEv20rocsparse_direction_NS_24const_host_device_scalarIT1_EET3_PKS5_PKT2_SA_S7_PKT4_S5_PKT5_S4_PT6_21rocsparse_index_base_b,comdat
	.globl	_ZN9rocsparseL22bsrxmvn_general_kernelILj256ELj16EdllfddEEv20rocsparse_direction_NS_24const_host_device_scalarIT1_EET3_PKS5_PKT2_SA_S7_PKT4_S5_PKT5_S4_PT6_21rocsparse_index_base_b ; -- Begin function _ZN9rocsparseL22bsrxmvn_general_kernelILj256ELj16EdllfddEEv20rocsparse_direction_NS_24const_host_device_scalarIT1_EET3_PKS5_PKT2_SA_S7_PKT4_S5_PKT5_S4_PT6_21rocsparse_index_base_b
	.p2align	8
	.type	_ZN9rocsparseL22bsrxmvn_general_kernelILj256ELj16EdllfddEEv20rocsparse_direction_NS_24const_host_device_scalarIT1_EET3_PKS5_PKT2_SA_S7_PKT4_S5_PKT5_S4_PT6_21rocsparse_index_base_b,@function
_ZN9rocsparseL22bsrxmvn_general_kernelILj256ELj16EdllfddEEv20rocsparse_direction_NS_24const_host_device_scalarIT1_EET3_PKS5_PKT2_SA_S7_PKT4_S5_PKT5_S4_PT6_21rocsparse_index_base_b: ; @_ZN9rocsparseL22bsrxmvn_general_kernelILj256ELj16EdllfddEEv20rocsparse_direction_NS_24const_host_device_scalarIT1_EET3_PKS5_PKT2_SA_S7_PKT4_S5_PKT5_S4_PT6_21rocsparse_index_base_b
; %bb.0:
	s_load_dwordx2 s[16:17], s[4:5], 0x60
	s_load_dwordx2 s[8:9], s[4:5], 0x8
	;; [unrolled: 1-line block ×3, first 2 shown]
	s_waitcnt lgkmcnt(0)
	s_bitcmp1_b32 s17, 0
	s_cselect_b64 s[10:11], -1, 0
	s_xor_b64 s[2:3], s[10:11], -1
	s_and_b64 vcc, exec, s[10:11]
	v_pk_mov_b32 v[2:3], s[8:9], s[8:9] op_sel:[0,1]
	s_cbranch_vccnz .LBB88_2
; %bb.1:
	v_pk_mov_b32 v[2:3], s[8:9], s[8:9] op_sel:[0,1]
	flat_load_dwordx2 v[2:3], v[2:3]
.LBB88_2:
	s_andn2_b64 vcc, exec, s[2:3]
	v_pk_mov_b32 v[4:5], s[0:1], s[0:1] op_sel:[0,1]
	s_cbranch_vccnz .LBB88_4
; %bb.3:
	v_pk_mov_b32 v[4:5], s[0:1], s[0:1] op_sel:[0,1]
	flat_load_dwordx2 v[4:5], v[4:5]
.LBB88_4:
	s_waitcnt vmcnt(0) lgkmcnt(0)
	v_cmp_neq_f64_e32 vcc, 0, v[2:3]
	v_cmp_neq_f64_e64 s[0:1], 1.0, v[4:5]
	s_or_b64 s[0:1], vcc, s[0:1]
	s_and_saveexec_b64 s[2:3], s[0:1]
	s_cbranch_execz .LBB88_26
; %bb.5:
	s_load_dwordx2 s[0:1], s[4:5], 0x18
	s_mov_b32 s7, 0
	s_waitcnt lgkmcnt(0)
	s_cmp_eq_u64 s[0:1], 0
	s_cbranch_scc1 .LBB88_7
; %bb.6:
	s_lshl_b64 s[2:3], s[6:7], 3
	s_add_u32 s0, s0, s2
	s_addc_u32 s1, s1, s3
	s_load_dwordx2 s[0:1], s[0:1], 0x0
	s_waitcnt lgkmcnt(0)
	s_sub_u32 s6, s0, s16
	s_subb_u32 s7, s1, 0
.LBB88_7:
	s_load_dwordx2 s[18:19], s[4:5], 0x40
	v_lshrrev_b32_e32 v6, 4, v0
	v_mov_b32_e32 v7, 0
	s_waitcnt lgkmcnt(0)
	v_cmp_gt_i64_e32 vcc, s[18:19], v[6:7]
	s_and_b64 exec, exec, vcc
	s_cbranch_execz .LBB88_26
; %bb.8:
	s_load_dwordx8 s[8:15], s[4:5], 0x20
	s_lshl_b64 s[0:1], s[6:7], 3
	s_mul_hi_u32 s30, s6, s18
	s_mul_i32 s7, s7, s18
	v_and_b32_e32 v0, 15, v0
	s_waitcnt lgkmcnt(0)
	s_add_u32 s2, s8, s0
	s_addc_u32 s3, s9, s1
	s_load_dwordx2 s[8:9], s[2:3], 0x0
	s_load_dwordx2 s[26:27], s[4:5], 0x58
	;; [unrolled: 1-line block ×3, first 2 shown]
	v_lshlrev_b32_e32 v8, 3, v0
	v_mov_b32_e32 v1, v7
	s_waitcnt lgkmcnt(0)
	s_sub_u32 s22, s8, s16
	s_subb_u32 s23, s9, 0
	s_add_u32 s2, s2, 8
	s_addc_u32 s3, s3, 0
	s_add_u32 s0, s10, s0
	s_addc_u32 s1, s11, s1
	s_cmp_eq_u64 s[10:11], 0
	s_cselect_b32 s1, s3, s1
	s_cselect_b32 s0, s2, s0
	s_load_dwordx2 s[24:25], s[0:1], 0x0
	s_load_dword s17, s[4:5], 0x0
	v_mov_b32_e32 v10, s22
	v_add_co_u32_e32 v8, vcc, s28, v8
	s_waitcnt lgkmcnt(0)
	s_sub_u32 s10, s24, s16
	s_subb_u32 s11, s25, 0
	s_cmp_lg_u32 s17, 0
	s_mul_i32 s17, s6, s19
	v_pk_mov_b32 v[12:13], s[24:25], s[24:25] op_sel:[0,1]
	s_cselect_b64 s[24:25], -1, 0
	s_add_i32 s17, s30, s17
	s_add_i32 s7, s17, s7
	s_mul_i32 s6, s6, s18
	s_lshl_b64 s[6:7], s[6:7], 3
	s_add_u32 s17, s26, s6
	s_addc_u32 s33, s27, s7
	s_mul_i32 s6, s19, s22
	s_mul_i32 s7, s18, s23
	s_add_i32 s28, s7, s6
	v_mad_u64_u32 v[10:11], s[6:7], s18, v10, v[6:7]
	v_mov_b32_e32 v9, s29
	v_add_u32_e32 v11, s28, v11
	v_addc_co_u32_e32 v9, vcc, 0, v9, vcc
	v_mul_lo_u32 v14, s18, v11
	v_mul_lo_u32 v15, s19, v10
	v_mad_u64_u32 v[10:11], s[6:7], s18, v10, 0
	s_mul_i32 s6, s18, s19
	s_mul_hi_u32 s7, s18, s18
	v_cmp_lt_i64_e32 vcc, s[8:9], v[12:13]
	s_add_i32 s7, s7, s6
	v_cndmask_b32_e64 v12, 0, 1, vcc
	s_mov_b64 s[20:21], 0
	v_cmp_eq_f64_e64 s[0:1], 0, v[4:5]
	v_cmp_gt_u64_e64 s[2:3], s[18:19], v[0:1]
	v_cmp_eq_u32_e64 s[4:5], 15, v0
	s_lshl_b64 s[26:27], s[18:19], 3
	v_add3_u32 v11, v11, v14, v15
	s_lshl_b64 s[28:29], s[18:19], 4
	s_add_i32 s38, s7, s6
	s_mul_i32 s39, s18, s18
	v_cmp_ne_u32_e64 s[6:7], 1, v12
	s_branch .LBB88_10
.LBB88_9:                               ;   in Loop: Header=BB88_10 Depth=1
	s_or_b64 exec, exec, s[8:9]
	v_add_co_u32_e32 v6, vcc, 16, v6
	v_addc_co_u32_e32 v7, vcc, 0, v7, vcc
	v_cmp_le_i64_e32 vcc, s[18:19], v[6:7]
	v_mov_b32_e32 v12, s29
	s_or_b64 s[20:21], vcc, s[20:21]
	v_add_co_u32_e32 v10, vcc, s28, v10
	v_addc_co_u32_e32 v11, vcc, v11, v12, vcc
	s_andn2_b64 exec, exec, s[20:21]
	s_cbranch_execz .LBB88_26
.LBB88_10:                              ; =>This Loop Header: Depth=1
                                        ;     Child Loop BB88_14 Depth 2
                                        ;       Child Loop BB88_17 Depth 3
	s_and_b64 vcc, exec, s[6:7]
	v_pk_mov_b32 v[12:13], 0, 0
	s_cbranch_vccnz .LBB88_21
; %bb.11:                               ;   in Loop: Header=BB88_10 Depth=1
	v_pk_mov_b32 v[12:13], 0, 0
	v_pk_mov_b32 v[14:15], v[10:11], v[10:11] op_sel:[0,1]
	s_mov_b64 s[30:31], s[22:23]
	s_branch .LBB88_14
.LBB88_12:                              ;   in Loop: Header=BB88_14 Depth=2
	s_or_b64 exec, exec, s[36:37]
.LBB88_13:                              ;   in Loop: Header=BB88_14 Depth=2
	s_or_b64 exec, exec, s[34:35]
	s_add_u32 s30, s30, 1
	v_mov_b32_e32 v16, s38
	v_add_co_u32_e32 v14, vcc, s39, v14
	s_addc_u32 s31, s31, 0
	v_addc_co_u32_e32 v15, vcc, v15, v16, vcc
	v_pk_mov_b32 v[16:17], s[10:11], s[10:11] op_sel:[0,1]
	v_cmp_ge_i64_e32 vcc, s[30:31], v[16:17]
	s_cbranch_vccnz .LBB88_21
.LBB88_14:                              ;   Parent Loop BB88_10 Depth=1
                                        ; =>  This Loop Header: Depth=2
                                        ;       Child Loop BB88_17 Depth 3
	s_and_saveexec_b64 s[34:35], s[2:3]
	s_cbranch_execz .LBB88_13
; %bb.15:                               ;   in Loop: Header=BB88_14 Depth=2
	s_lshl_b64 s[8:9], s[30:31], 3
	s_add_u32 s8, s12, s8
	s_addc_u32 s9, s13, s9
	s_load_dwordx2 s[8:9], s[8:9], 0x0
	s_mul_i32 s36, s30, s19
	s_mul_hi_u32 s37, s30, s18
	s_mul_i32 s40, s31, s18
	s_mul_i32 s41, s30, s18
	s_waitcnt lgkmcnt(0)
	s_sub_u32 s8, s8, s16
	s_subb_u32 s9, s9, 0
	s_add_i32 s36, s37, s36
	s_add_i32 s40, s36, s40
	s_mul_i32 s36, s27, s8
	s_mul_i32 s9, s26, s9
	v_mov_b32_e32 v16, s8
	s_add_i32 s36, s9, s36
	v_mad_u64_u32 v[16:17], s[8:9], s26, v16, v[8:9]
	v_add_u32_e32 v17, s36, v17
	s_mov_b64 s[36:37], 0
	v_pk_mov_b32 v[18:19], v[0:1], v[0:1] op_sel:[0,1]
	s_branch .LBB88_17
.LBB88_16:                              ;   in Loop: Header=BB88_17 Depth=3
	v_lshlrev_b64 v[20:21], 2, v[20:21]
	v_mov_b32_e32 v22, s15
	v_add_co_u32_e32 v20, vcc, s14, v20
	v_addc_co_u32_e32 v21, vcc, v22, v21, vcc
	global_load_dword v24, v[20:21], off
	global_load_dwordx2 v[22:23], v[16:17], off
	v_add_co_u32_e32 v18, vcc, 16, v18
	v_addc_co_u32_e32 v19, vcc, 0, v19, vcc
	v_add_co_u32_e32 v16, vcc, 0x80, v16
	v_cmp_le_i64_e64 s[8:9], s[18:19], v[18:19]
	s_or_b64 s[36:37], s[8:9], s[36:37]
	v_addc_co_u32_e32 v17, vcc, 0, v17, vcc
	s_waitcnt vmcnt(1)
	v_cvt_f64_f32_e32 v[20:21], v24
	s_waitcnt vmcnt(0)
	v_fmac_f64_e32 v[12:13], v[20:21], v[22:23]
	s_andn2_b64 exec, exec, s[36:37]
	s_cbranch_execz .LBB88_12
.LBB88_17:                              ;   Parent Loop BB88_10 Depth=1
                                        ;     Parent Loop BB88_14 Depth=2
                                        ; =>    This Inner Loop Header: Depth=3
	s_and_b64 vcc, exec, s[24:25]
	s_cbranch_vccz .LBB88_19
; %bb.18:                               ;   in Loop: Header=BB88_17 Depth=3
	v_mov_b32_e32 v20, s40
	v_add_co_u32_e32 v21, vcc, s41, v18
	v_addc_co_u32_e32 v20, vcc, v19, v20, vcc
	v_mul_lo_u32 v22, v21, s19
	v_mul_lo_u32 v23, v20, s18
	v_mad_u64_u32 v[20:21], s[8:9], v21, s18, v[6:7]
	v_add3_u32 v21, v23, v21, v22
	s_cbranch_execnz .LBB88_16
	s_branch .LBB88_20
.LBB88_19:                              ;   in Loop: Header=BB88_17 Depth=3
                                        ; implicit-def: $vgpr20_vgpr21
.LBB88_20:                              ;   in Loop: Header=BB88_17 Depth=3
	v_add_co_u32_e32 v20, vcc, v14, v18
	v_addc_co_u32_e32 v21, vcc, v15, v19, vcc
	s_branch .LBB88_16
.LBB88_21:                              ;   in Loop: Header=BB88_10 Depth=1
	s_nop 0
	v_mov_b32_dpp v14, v12 row_shr:1 row_mask:0xf bank_mask:0xf
	v_mov_b32_dpp v15, v13 row_shr:1 row_mask:0xf bank_mask:0xf
	v_add_f64 v[12:13], v[12:13], v[14:15]
	s_nop 1
	v_mov_b32_dpp v14, v12 row_shr:2 row_mask:0xf bank_mask:0xf
	v_mov_b32_dpp v15, v13 row_shr:2 row_mask:0xf bank_mask:0xf
	v_add_f64 v[12:13], v[12:13], v[14:15]
	;; [unrolled: 4-line block ×3, first 2 shown]
	s_nop 1
	v_mov_b32_dpp v14, v12 row_shr:8 row_mask:0xf bank_mask:0xc
	v_mov_b32_dpp v15, v13 row_shr:8 row_mask:0xf bank_mask:0xc
	s_and_saveexec_b64 s[8:9], s[4:5]
	s_cbranch_execz .LBB88_9
; %bb.22:                               ;   in Loop: Header=BB88_10 Depth=1
	v_add_f64 v[12:13], v[12:13], v[14:15]
	v_mul_f64 v[12:13], v[2:3], v[12:13]
	v_lshlrev_b64 v[14:15], 3, v[6:7]
	s_and_saveexec_b64 s[30:31], s[0:1]
	s_xor_b64 s[30:31], exec, s[30:31]
	s_cbranch_execz .LBB88_24
; %bb.23:                               ;   in Loop: Header=BB88_10 Depth=1
	v_mov_b32_e32 v16, s33
	v_add_co_u32_e32 v14, vcc, s17, v14
	v_addc_co_u32_e32 v15, vcc, v16, v15, vcc
	global_store_dwordx2 v[14:15], v[12:13], off
                                        ; implicit-def: $vgpr14_vgpr15
                                        ; implicit-def: $vgpr12_vgpr13
.LBB88_24:                              ;   in Loop: Header=BB88_10 Depth=1
	s_andn2_saveexec_b64 s[30:31], s[30:31]
	s_cbranch_execz .LBB88_9
; %bb.25:                               ;   in Loop: Header=BB88_10 Depth=1
	v_mov_b32_e32 v16, s33
	v_add_co_u32_e32 v14, vcc, s17, v14
	v_addc_co_u32_e32 v15, vcc, v16, v15, vcc
	global_load_dwordx2 v[16:17], v[14:15], off
	s_waitcnt vmcnt(0)
	v_fmac_f64_e32 v[12:13], v[4:5], v[16:17]
	global_store_dwordx2 v[14:15], v[12:13], off
	s_branch .LBB88_9
.LBB88_26:
	s_endpgm
	.section	.rodata,"a",@progbits
	.p2align	6, 0x0
	.amdhsa_kernel _ZN9rocsparseL22bsrxmvn_general_kernelILj256ELj16EdllfddEEv20rocsparse_direction_NS_24const_host_device_scalarIT1_EET3_PKS5_PKT2_SA_S7_PKT4_S5_PKT5_S4_PT6_21rocsparse_index_base_b
		.amdhsa_group_segment_fixed_size 0
		.amdhsa_private_segment_fixed_size 0
		.amdhsa_kernarg_size 104
		.amdhsa_user_sgpr_count 6
		.amdhsa_user_sgpr_private_segment_buffer 1
		.amdhsa_user_sgpr_dispatch_ptr 0
		.amdhsa_user_sgpr_queue_ptr 0
		.amdhsa_user_sgpr_kernarg_segment_ptr 1
		.amdhsa_user_sgpr_dispatch_id 0
		.amdhsa_user_sgpr_flat_scratch_init 0
		.amdhsa_user_sgpr_kernarg_preload_length 0
		.amdhsa_user_sgpr_kernarg_preload_offset 0
		.amdhsa_user_sgpr_private_segment_size 0
		.amdhsa_uses_dynamic_stack 0
		.amdhsa_system_sgpr_private_segment_wavefront_offset 0
		.amdhsa_system_sgpr_workgroup_id_x 1
		.amdhsa_system_sgpr_workgroup_id_y 0
		.amdhsa_system_sgpr_workgroup_id_z 0
		.amdhsa_system_sgpr_workgroup_info 0
		.amdhsa_system_vgpr_workitem_id 0
		.amdhsa_next_free_vgpr 25
		.amdhsa_next_free_sgpr 42
		.amdhsa_accum_offset 28
		.amdhsa_reserve_vcc 1
		.amdhsa_reserve_flat_scratch 0
		.amdhsa_float_round_mode_32 0
		.amdhsa_float_round_mode_16_64 0
		.amdhsa_float_denorm_mode_32 3
		.amdhsa_float_denorm_mode_16_64 3
		.amdhsa_dx10_clamp 1
		.amdhsa_ieee_mode 1
		.amdhsa_fp16_overflow 0
		.amdhsa_tg_split 0
		.amdhsa_exception_fp_ieee_invalid_op 0
		.amdhsa_exception_fp_denorm_src 0
		.amdhsa_exception_fp_ieee_div_zero 0
		.amdhsa_exception_fp_ieee_overflow 0
		.amdhsa_exception_fp_ieee_underflow 0
		.amdhsa_exception_fp_ieee_inexact 0
		.amdhsa_exception_int_div_zero 0
	.end_amdhsa_kernel
	.section	.text._ZN9rocsparseL22bsrxmvn_general_kernelILj256ELj16EdllfddEEv20rocsparse_direction_NS_24const_host_device_scalarIT1_EET3_PKS5_PKT2_SA_S7_PKT4_S5_PKT5_S4_PT6_21rocsparse_index_base_b,"axG",@progbits,_ZN9rocsparseL22bsrxmvn_general_kernelILj256ELj16EdllfddEEv20rocsparse_direction_NS_24const_host_device_scalarIT1_EET3_PKS5_PKT2_SA_S7_PKT4_S5_PKT5_S4_PT6_21rocsparse_index_base_b,comdat
.Lfunc_end88:
	.size	_ZN9rocsparseL22bsrxmvn_general_kernelILj256ELj16EdllfddEEv20rocsparse_direction_NS_24const_host_device_scalarIT1_EET3_PKS5_PKT2_SA_S7_PKT4_S5_PKT5_S4_PT6_21rocsparse_index_base_b, .Lfunc_end88-_ZN9rocsparseL22bsrxmvn_general_kernelILj256ELj16EdllfddEEv20rocsparse_direction_NS_24const_host_device_scalarIT1_EET3_PKS5_PKT2_SA_S7_PKT4_S5_PKT5_S4_PT6_21rocsparse_index_base_b
                                        ; -- End function
	.section	.AMDGPU.csdata,"",@progbits
; Kernel info:
; codeLenInByte = 1168
; NumSgprs: 46
; NumVgprs: 25
; NumAgprs: 0
; TotalNumVgprs: 25
; ScratchSize: 0
; MemoryBound: 0
; FloatMode: 240
; IeeeMode: 1
; LDSByteSize: 0 bytes/workgroup (compile time only)
; SGPRBlocks: 5
; VGPRBlocks: 3
; NumSGPRsForWavesPerEU: 46
; NumVGPRsForWavesPerEU: 25
; AccumOffset: 28
; Occupancy: 8
; WaveLimiterHint : 1
; COMPUTE_PGM_RSRC2:SCRATCH_EN: 0
; COMPUTE_PGM_RSRC2:USER_SGPR: 6
; COMPUTE_PGM_RSRC2:TRAP_HANDLER: 0
; COMPUTE_PGM_RSRC2:TGID_X_EN: 1
; COMPUTE_PGM_RSRC2:TGID_Y_EN: 0
; COMPUTE_PGM_RSRC2:TGID_Z_EN: 0
; COMPUTE_PGM_RSRC2:TIDIG_COMP_CNT: 0
; COMPUTE_PGM_RSRC3_GFX90A:ACCUM_OFFSET: 6
; COMPUTE_PGM_RSRC3_GFX90A:TG_SPLIT: 0
	.section	.text._ZN9rocsparseL22bsrxmvn_general_kernelILj1024ELj32EdllfddEEv20rocsparse_direction_NS_24const_host_device_scalarIT1_EET3_PKS5_PKT2_SA_S7_PKT4_S5_PKT5_S4_PT6_21rocsparse_index_base_b,"axG",@progbits,_ZN9rocsparseL22bsrxmvn_general_kernelILj1024ELj32EdllfddEEv20rocsparse_direction_NS_24const_host_device_scalarIT1_EET3_PKS5_PKT2_SA_S7_PKT4_S5_PKT5_S4_PT6_21rocsparse_index_base_b,comdat
	.globl	_ZN9rocsparseL22bsrxmvn_general_kernelILj1024ELj32EdllfddEEv20rocsparse_direction_NS_24const_host_device_scalarIT1_EET3_PKS5_PKT2_SA_S7_PKT4_S5_PKT5_S4_PT6_21rocsparse_index_base_b ; -- Begin function _ZN9rocsparseL22bsrxmvn_general_kernelILj1024ELj32EdllfddEEv20rocsparse_direction_NS_24const_host_device_scalarIT1_EET3_PKS5_PKT2_SA_S7_PKT4_S5_PKT5_S4_PT6_21rocsparse_index_base_b
	.p2align	8
	.type	_ZN9rocsparseL22bsrxmvn_general_kernelILj1024ELj32EdllfddEEv20rocsparse_direction_NS_24const_host_device_scalarIT1_EET3_PKS5_PKT2_SA_S7_PKT4_S5_PKT5_S4_PT6_21rocsparse_index_base_b,@function
_ZN9rocsparseL22bsrxmvn_general_kernelILj1024ELj32EdllfddEEv20rocsparse_direction_NS_24const_host_device_scalarIT1_EET3_PKS5_PKT2_SA_S7_PKT4_S5_PKT5_S4_PT6_21rocsparse_index_base_b: ; @_ZN9rocsparseL22bsrxmvn_general_kernelILj1024ELj32EdllfddEEv20rocsparse_direction_NS_24const_host_device_scalarIT1_EET3_PKS5_PKT2_SA_S7_PKT4_S5_PKT5_S4_PT6_21rocsparse_index_base_b
; %bb.0:
	s_load_dwordx2 s[16:17], s[4:5], 0x60
	s_load_dwordx2 s[8:9], s[4:5], 0x8
	;; [unrolled: 1-line block ×3, first 2 shown]
	s_waitcnt lgkmcnt(0)
	s_bitcmp1_b32 s17, 0
	s_cselect_b64 s[10:11], -1, 0
	s_xor_b64 s[2:3], s[10:11], -1
	s_and_b64 vcc, exec, s[10:11]
	v_pk_mov_b32 v[2:3], s[8:9], s[8:9] op_sel:[0,1]
	s_cbranch_vccnz .LBB89_2
; %bb.1:
	v_pk_mov_b32 v[2:3], s[8:9], s[8:9] op_sel:[0,1]
	flat_load_dwordx2 v[2:3], v[2:3]
.LBB89_2:
	s_andn2_b64 vcc, exec, s[2:3]
	v_pk_mov_b32 v[4:5], s[0:1], s[0:1] op_sel:[0,1]
	s_cbranch_vccnz .LBB89_4
; %bb.3:
	v_pk_mov_b32 v[4:5], s[0:1], s[0:1] op_sel:[0,1]
	flat_load_dwordx2 v[4:5], v[4:5]
.LBB89_4:
	s_waitcnt vmcnt(0) lgkmcnt(0)
	v_cmp_neq_f64_e32 vcc, 0, v[2:3]
	v_cmp_neq_f64_e64 s[0:1], 1.0, v[4:5]
	s_or_b64 s[0:1], vcc, s[0:1]
	s_and_saveexec_b64 s[2:3], s[0:1]
	s_cbranch_execz .LBB89_26
; %bb.5:
	s_load_dwordx2 s[0:1], s[4:5], 0x18
	s_mov_b32 s7, 0
	s_waitcnt lgkmcnt(0)
	s_cmp_eq_u64 s[0:1], 0
	s_cbranch_scc1 .LBB89_7
; %bb.6:
	s_lshl_b64 s[2:3], s[6:7], 3
	s_add_u32 s0, s0, s2
	s_addc_u32 s1, s1, s3
	s_load_dwordx2 s[0:1], s[0:1], 0x0
	s_waitcnt lgkmcnt(0)
	s_sub_u32 s6, s0, s16
	s_subb_u32 s7, s1, 0
.LBB89_7:
	s_load_dwordx2 s[18:19], s[4:5], 0x40
	v_lshrrev_b32_e32 v6, 5, v0
	v_mov_b32_e32 v7, 0
	s_waitcnt lgkmcnt(0)
	v_cmp_gt_i64_e32 vcc, s[18:19], v[6:7]
	s_and_b64 exec, exec, vcc
	s_cbranch_execz .LBB89_26
; %bb.8:
	s_load_dwordx8 s[8:15], s[4:5], 0x20
	s_lshl_b64 s[0:1], s[6:7], 3
	s_mul_hi_u32 s30, s6, s18
	s_mul_i32 s7, s7, s18
	v_and_b32_e32 v0, 31, v0
	s_waitcnt lgkmcnt(0)
	s_add_u32 s2, s8, s0
	s_addc_u32 s3, s9, s1
	s_load_dwordx2 s[8:9], s[2:3], 0x0
	s_load_dwordx2 s[26:27], s[4:5], 0x58
	;; [unrolled: 1-line block ×3, first 2 shown]
	v_lshlrev_b32_e32 v8, 3, v0
	v_mov_b32_e32 v1, v7
	s_waitcnt lgkmcnt(0)
	s_sub_u32 s22, s8, s16
	s_subb_u32 s23, s9, 0
	s_add_u32 s2, s2, 8
	s_addc_u32 s3, s3, 0
	s_add_u32 s0, s10, s0
	s_addc_u32 s1, s11, s1
	s_cmp_eq_u64 s[10:11], 0
	s_cselect_b32 s1, s3, s1
	s_cselect_b32 s0, s2, s0
	s_load_dwordx2 s[24:25], s[0:1], 0x0
	s_load_dword s17, s[4:5], 0x0
	v_mov_b32_e32 v10, s22
	v_add_co_u32_e32 v8, vcc, s28, v8
	s_waitcnt lgkmcnt(0)
	s_sub_u32 s10, s24, s16
	s_subb_u32 s11, s25, 0
	s_cmp_lg_u32 s17, 0
	s_mul_i32 s17, s6, s19
	v_pk_mov_b32 v[12:13], s[24:25], s[24:25] op_sel:[0,1]
	s_cselect_b64 s[24:25], -1, 0
	s_add_i32 s17, s30, s17
	s_add_i32 s7, s17, s7
	s_mul_i32 s6, s6, s18
	s_lshl_b64 s[6:7], s[6:7], 3
	s_add_u32 s17, s26, s6
	s_addc_u32 s33, s27, s7
	s_mul_i32 s6, s19, s22
	s_mul_i32 s7, s18, s23
	s_add_i32 s28, s7, s6
	v_mad_u64_u32 v[10:11], s[6:7], s18, v10, v[6:7]
	v_mov_b32_e32 v9, s29
	v_add_u32_e32 v11, s28, v11
	v_addc_co_u32_e32 v9, vcc, 0, v9, vcc
	v_mul_lo_u32 v14, s18, v11
	v_mul_lo_u32 v15, s19, v10
	v_mad_u64_u32 v[10:11], s[6:7], s18, v10, 0
	s_mul_i32 s6, s18, s19
	s_mul_hi_u32 s7, s18, s18
	v_cmp_lt_i64_e32 vcc, s[8:9], v[12:13]
	s_add_i32 s7, s7, s6
	v_cndmask_b32_e64 v12, 0, 1, vcc
	s_mov_b64 s[20:21], 0
	v_cmp_eq_f64_e64 s[0:1], 0, v[4:5]
	v_cmp_gt_u64_e64 s[2:3], s[18:19], v[0:1]
	v_cmp_eq_u32_e64 s[4:5], 31, v0
	s_lshl_b64 s[26:27], s[18:19], 3
	v_add3_u32 v11, v11, v14, v15
	s_lshl_b64 s[28:29], s[18:19], 5
	s_add_i32 s38, s7, s6
	s_mul_i32 s39, s18, s18
	v_cmp_ne_u32_e64 s[6:7], 1, v12
	s_branch .LBB89_10
.LBB89_9:                               ;   in Loop: Header=BB89_10 Depth=1
	s_or_b64 exec, exec, s[8:9]
	v_add_co_u32_e32 v6, vcc, 32, v6
	v_addc_co_u32_e32 v7, vcc, 0, v7, vcc
	v_cmp_le_i64_e32 vcc, s[18:19], v[6:7]
	v_mov_b32_e32 v12, s29
	s_or_b64 s[20:21], vcc, s[20:21]
	v_add_co_u32_e32 v10, vcc, s28, v10
	v_addc_co_u32_e32 v11, vcc, v11, v12, vcc
	s_andn2_b64 exec, exec, s[20:21]
	s_cbranch_execz .LBB89_26
.LBB89_10:                              ; =>This Loop Header: Depth=1
                                        ;     Child Loop BB89_14 Depth 2
                                        ;       Child Loop BB89_17 Depth 3
	s_and_b64 vcc, exec, s[6:7]
	v_pk_mov_b32 v[12:13], 0, 0
	s_cbranch_vccnz .LBB89_21
; %bb.11:                               ;   in Loop: Header=BB89_10 Depth=1
	v_pk_mov_b32 v[12:13], 0, 0
	v_pk_mov_b32 v[14:15], v[10:11], v[10:11] op_sel:[0,1]
	s_mov_b64 s[30:31], s[22:23]
	s_branch .LBB89_14
.LBB89_12:                              ;   in Loop: Header=BB89_14 Depth=2
	s_or_b64 exec, exec, s[36:37]
.LBB89_13:                              ;   in Loop: Header=BB89_14 Depth=2
	s_or_b64 exec, exec, s[34:35]
	s_add_u32 s30, s30, 1
	v_mov_b32_e32 v16, s38
	v_add_co_u32_e32 v14, vcc, s39, v14
	s_addc_u32 s31, s31, 0
	v_addc_co_u32_e32 v15, vcc, v15, v16, vcc
	v_pk_mov_b32 v[16:17], s[10:11], s[10:11] op_sel:[0,1]
	v_cmp_ge_i64_e32 vcc, s[30:31], v[16:17]
	s_cbranch_vccnz .LBB89_21
.LBB89_14:                              ;   Parent Loop BB89_10 Depth=1
                                        ; =>  This Loop Header: Depth=2
                                        ;       Child Loop BB89_17 Depth 3
	s_and_saveexec_b64 s[34:35], s[2:3]
	s_cbranch_execz .LBB89_13
; %bb.15:                               ;   in Loop: Header=BB89_14 Depth=2
	s_lshl_b64 s[8:9], s[30:31], 3
	s_add_u32 s8, s12, s8
	s_addc_u32 s9, s13, s9
	s_load_dwordx2 s[8:9], s[8:9], 0x0
	s_mul_i32 s36, s30, s19
	s_mul_hi_u32 s37, s30, s18
	s_mul_i32 s40, s31, s18
	s_mul_i32 s41, s30, s18
	s_waitcnt lgkmcnt(0)
	s_sub_u32 s8, s8, s16
	s_subb_u32 s9, s9, 0
	s_add_i32 s36, s37, s36
	s_add_i32 s40, s36, s40
	s_mul_i32 s36, s27, s8
	s_mul_i32 s9, s26, s9
	v_mov_b32_e32 v16, s8
	s_add_i32 s36, s9, s36
	v_mad_u64_u32 v[16:17], s[8:9], s26, v16, v[8:9]
	v_add_u32_e32 v17, s36, v17
	s_mov_b64 s[36:37], 0
	v_pk_mov_b32 v[18:19], v[0:1], v[0:1] op_sel:[0,1]
	s_branch .LBB89_17
.LBB89_16:                              ;   in Loop: Header=BB89_17 Depth=3
	v_lshlrev_b64 v[20:21], 2, v[20:21]
	v_mov_b32_e32 v22, s15
	v_add_co_u32_e32 v20, vcc, s14, v20
	v_addc_co_u32_e32 v21, vcc, v22, v21, vcc
	global_load_dword v24, v[20:21], off
	global_load_dwordx2 v[22:23], v[16:17], off
	v_add_co_u32_e32 v18, vcc, 32, v18
	v_addc_co_u32_e32 v19, vcc, 0, v19, vcc
	v_add_co_u32_e32 v16, vcc, 0x100, v16
	v_cmp_le_i64_e64 s[8:9], s[18:19], v[18:19]
	s_or_b64 s[36:37], s[8:9], s[36:37]
	v_addc_co_u32_e32 v17, vcc, 0, v17, vcc
	s_waitcnt vmcnt(1)
	v_cvt_f64_f32_e32 v[20:21], v24
	s_waitcnt vmcnt(0)
	v_fmac_f64_e32 v[12:13], v[20:21], v[22:23]
	s_andn2_b64 exec, exec, s[36:37]
	s_cbranch_execz .LBB89_12
.LBB89_17:                              ;   Parent Loop BB89_10 Depth=1
                                        ;     Parent Loop BB89_14 Depth=2
                                        ; =>    This Inner Loop Header: Depth=3
	s_and_b64 vcc, exec, s[24:25]
	s_cbranch_vccz .LBB89_19
; %bb.18:                               ;   in Loop: Header=BB89_17 Depth=3
	v_mov_b32_e32 v20, s40
	v_add_co_u32_e32 v21, vcc, s41, v18
	v_addc_co_u32_e32 v20, vcc, v19, v20, vcc
	v_mul_lo_u32 v22, v21, s19
	v_mul_lo_u32 v23, v20, s18
	v_mad_u64_u32 v[20:21], s[8:9], v21, s18, v[6:7]
	v_add3_u32 v21, v23, v21, v22
	s_cbranch_execnz .LBB89_16
	s_branch .LBB89_20
.LBB89_19:                              ;   in Loop: Header=BB89_17 Depth=3
                                        ; implicit-def: $vgpr20_vgpr21
.LBB89_20:                              ;   in Loop: Header=BB89_17 Depth=3
	v_add_co_u32_e32 v20, vcc, v14, v18
	v_addc_co_u32_e32 v21, vcc, v15, v19, vcc
	s_branch .LBB89_16
.LBB89_21:                              ;   in Loop: Header=BB89_10 Depth=1
	s_nop 0
	v_mov_b32_dpp v14, v12 row_shr:1 row_mask:0xf bank_mask:0xf
	v_mov_b32_dpp v15, v13 row_shr:1 row_mask:0xf bank_mask:0xf
	v_add_f64 v[12:13], v[12:13], v[14:15]
	s_nop 1
	v_mov_b32_dpp v14, v12 row_shr:2 row_mask:0xf bank_mask:0xf
	v_mov_b32_dpp v15, v13 row_shr:2 row_mask:0xf bank_mask:0xf
	v_add_f64 v[12:13], v[12:13], v[14:15]
	;; [unrolled: 4-line block ×4, first 2 shown]
	s_nop 1
	v_mov_b32_dpp v14, v12 row_bcast:15 row_mask:0xa bank_mask:0xf
	v_mov_b32_dpp v15, v13 row_bcast:15 row_mask:0xa bank_mask:0xf
	s_and_saveexec_b64 s[8:9], s[4:5]
	s_cbranch_execz .LBB89_9
; %bb.22:                               ;   in Loop: Header=BB89_10 Depth=1
	v_add_f64 v[12:13], v[12:13], v[14:15]
	v_mul_f64 v[12:13], v[2:3], v[12:13]
	v_lshlrev_b64 v[14:15], 3, v[6:7]
	s_and_saveexec_b64 s[30:31], s[0:1]
	s_xor_b64 s[30:31], exec, s[30:31]
	s_cbranch_execz .LBB89_24
; %bb.23:                               ;   in Loop: Header=BB89_10 Depth=1
	v_mov_b32_e32 v16, s33
	v_add_co_u32_e32 v14, vcc, s17, v14
	v_addc_co_u32_e32 v15, vcc, v16, v15, vcc
	global_store_dwordx2 v[14:15], v[12:13], off
                                        ; implicit-def: $vgpr14_vgpr15
                                        ; implicit-def: $vgpr12_vgpr13
.LBB89_24:                              ;   in Loop: Header=BB89_10 Depth=1
	s_andn2_saveexec_b64 s[30:31], s[30:31]
	s_cbranch_execz .LBB89_9
; %bb.25:                               ;   in Loop: Header=BB89_10 Depth=1
	v_mov_b32_e32 v16, s33
	v_add_co_u32_e32 v14, vcc, s17, v14
	v_addc_co_u32_e32 v15, vcc, v16, v15, vcc
	global_load_dwordx2 v[16:17], v[14:15], off
	s_waitcnt vmcnt(0)
	v_fmac_f64_e32 v[12:13], v[4:5], v[16:17]
	global_store_dwordx2 v[14:15], v[12:13], off
	s_branch .LBB89_9
.LBB89_26:
	s_endpgm
	.section	.rodata,"a",@progbits
	.p2align	6, 0x0
	.amdhsa_kernel _ZN9rocsparseL22bsrxmvn_general_kernelILj1024ELj32EdllfddEEv20rocsparse_direction_NS_24const_host_device_scalarIT1_EET3_PKS5_PKT2_SA_S7_PKT4_S5_PKT5_S4_PT6_21rocsparse_index_base_b
		.amdhsa_group_segment_fixed_size 0
		.amdhsa_private_segment_fixed_size 0
		.amdhsa_kernarg_size 104
		.amdhsa_user_sgpr_count 6
		.amdhsa_user_sgpr_private_segment_buffer 1
		.amdhsa_user_sgpr_dispatch_ptr 0
		.amdhsa_user_sgpr_queue_ptr 0
		.amdhsa_user_sgpr_kernarg_segment_ptr 1
		.amdhsa_user_sgpr_dispatch_id 0
		.amdhsa_user_sgpr_flat_scratch_init 0
		.amdhsa_user_sgpr_kernarg_preload_length 0
		.amdhsa_user_sgpr_kernarg_preload_offset 0
		.amdhsa_user_sgpr_private_segment_size 0
		.amdhsa_uses_dynamic_stack 0
		.amdhsa_system_sgpr_private_segment_wavefront_offset 0
		.amdhsa_system_sgpr_workgroup_id_x 1
		.amdhsa_system_sgpr_workgroup_id_y 0
		.amdhsa_system_sgpr_workgroup_id_z 0
		.amdhsa_system_sgpr_workgroup_info 0
		.amdhsa_system_vgpr_workitem_id 0
		.amdhsa_next_free_vgpr 25
		.amdhsa_next_free_sgpr 42
		.amdhsa_accum_offset 28
		.amdhsa_reserve_vcc 1
		.amdhsa_reserve_flat_scratch 0
		.amdhsa_float_round_mode_32 0
		.amdhsa_float_round_mode_16_64 0
		.amdhsa_float_denorm_mode_32 3
		.amdhsa_float_denorm_mode_16_64 3
		.amdhsa_dx10_clamp 1
		.amdhsa_ieee_mode 1
		.amdhsa_fp16_overflow 0
		.amdhsa_tg_split 0
		.amdhsa_exception_fp_ieee_invalid_op 0
		.amdhsa_exception_fp_denorm_src 0
		.amdhsa_exception_fp_ieee_div_zero 0
		.amdhsa_exception_fp_ieee_overflow 0
		.amdhsa_exception_fp_ieee_underflow 0
		.amdhsa_exception_fp_ieee_inexact 0
		.amdhsa_exception_int_div_zero 0
	.end_amdhsa_kernel
	.section	.text._ZN9rocsparseL22bsrxmvn_general_kernelILj1024ELj32EdllfddEEv20rocsparse_direction_NS_24const_host_device_scalarIT1_EET3_PKS5_PKT2_SA_S7_PKT4_S5_PKT5_S4_PT6_21rocsparse_index_base_b,"axG",@progbits,_ZN9rocsparseL22bsrxmvn_general_kernelILj1024ELj32EdllfddEEv20rocsparse_direction_NS_24const_host_device_scalarIT1_EET3_PKS5_PKT2_SA_S7_PKT4_S5_PKT5_S4_PT6_21rocsparse_index_base_b,comdat
.Lfunc_end89:
	.size	_ZN9rocsparseL22bsrxmvn_general_kernelILj1024ELj32EdllfddEEv20rocsparse_direction_NS_24const_host_device_scalarIT1_EET3_PKS5_PKT2_SA_S7_PKT4_S5_PKT5_S4_PT6_21rocsparse_index_base_b, .Lfunc_end89-_ZN9rocsparseL22bsrxmvn_general_kernelILj1024ELj32EdllfddEEv20rocsparse_direction_NS_24const_host_device_scalarIT1_EET3_PKS5_PKT2_SA_S7_PKT4_S5_PKT5_S4_PT6_21rocsparse_index_base_b
                                        ; -- End function
	.section	.AMDGPU.csdata,"",@progbits
; Kernel info:
; codeLenInByte = 1196
; NumSgprs: 46
; NumVgprs: 25
; NumAgprs: 0
; TotalNumVgprs: 25
; ScratchSize: 0
; MemoryBound: 0
; FloatMode: 240
; IeeeMode: 1
; LDSByteSize: 0 bytes/workgroup (compile time only)
; SGPRBlocks: 5
; VGPRBlocks: 3
; NumSGPRsForWavesPerEU: 46
; NumVGPRsForWavesPerEU: 25
; AccumOffset: 28
; Occupancy: 8
; WaveLimiterHint : 1
; COMPUTE_PGM_RSRC2:SCRATCH_EN: 0
; COMPUTE_PGM_RSRC2:USER_SGPR: 6
; COMPUTE_PGM_RSRC2:TRAP_HANDLER: 0
; COMPUTE_PGM_RSRC2:TGID_X_EN: 1
; COMPUTE_PGM_RSRC2:TGID_Y_EN: 0
; COMPUTE_PGM_RSRC2:TGID_Z_EN: 0
; COMPUTE_PGM_RSRC2:TIDIG_COMP_CNT: 0
; COMPUTE_PGM_RSRC3_GFX90A:ACCUM_OFFSET: 6
; COMPUTE_PGM_RSRC3_GFX90A:TG_SPLIT: 0
	.section	.text._ZN9rocsparseL22bsrxmvn_general_kernelILj64ELj8E21rocsparse_complex_numIdEiidS2_S2_EEv20rocsparse_direction_NS_24const_host_device_scalarIT1_EET3_PKS7_PKT2_SC_S9_PKT4_S7_PKT5_S6_PT6_21rocsparse_index_base_b,"axG",@progbits,_ZN9rocsparseL22bsrxmvn_general_kernelILj64ELj8E21rocsparse_complex_numIdEiidS2_S2_EEv20rocsparse_direction_NS_24const_host_device_scalarIT1_EET3_PKS7_PKT2_SC_S9_PKT4_S7_PKT5_S6_PT6_21rocsparse_index_base_b,comdat
	.globl	_ZN9rocsparseL22bsrxmvn_general_kernelILj64ELj8E21rocsparse_complex_numIdEiidS2_S2_EEv20rocsparse_direction_NS_24const_host_device_scalarIT1_EET3_PKS7_PKT2_SC_S9_PKT4_S7_PKT5_S6_PT6_21rocsparse_index_base_b ; -- Begin function _ZN9rocsparseL22bsrxmvn_general_kernelILj64ELj8E21rocsparse_complex_numIdEiidS2_S2_EEv20rocsparse_direction_NS_24const_host_device_scalarIT1_EET3_PKS7_PKT2_SC_S9_PKT4_S7_PKT5_S6_PT6_21rocsparse_index_base_b
	.p2align	8
	.type	_ZN9rocsparseL22bsrxmvn_general_kernelILj64ELj8E21rocsparse_complex_numIdEiidS2_S2_EEv20rocsparse_direction_NS_24const_host_device_scalarIT1_EET3_PKS7_PKT2_SC_S9_PKT4_S7_PKT5_S6_PT6_21rocsparse_index_base_b,@function
_ZN9rocsparseL22bsrxmvn_general_kernelILj64ELj8E21rocsparse_complex_numIdEiidS2_S2_EEv20rocsparse_direction_NS_24const_host_device_scalarIT1_EET3_PKS7_PKT2_SC_S9_PKT4_S7_PKT5_S6_PT6_21rocsparse_index_base_b: ; @_ZN9rocsparseL22bsrxmvn_general_kernelILj64ELj8E21rocsparse_complex_numIdEiidS2_S2_EEv20rocsparse_direction_NS_24const_host_device_scalarIT1_EET3_PKS7_PKT2_SC_S9_PKT4_S7_PKT5_S6_PT6_21rocsparse_index_base_b
; %bb.0:
	s_load_dwordx2 s[10:11], s[6:7], 0x70
	s_load_dwordx4 s[12:15], s[6:7], 0x8
	s_load_dwordx2 s[20:21], s[4:5], 0x4
	s_load_dwordx4 s[16:19], s[6:7], 0x58
	s_mov_b64 s[2:3], src_shared_base
	v_bfe_u32 v2, v0, 10, 10
	s_waitcnt lgkmcnt(0)
	s_bitcmp1_b32 s11, 0
	s_cselect_b64 s[0:1], -1, 0
	s_and_b64 vcc, s[0:1], exec
	s_cselect_b32 s2, s3, s13
	s_lshr_b32 s4, s20, 16
	v_and_b32_e32 v1, 0x3ff, v0
	s_mul_i32 s4, s4, s21
	v_mul_u32_u24_e32 v2, s21, v2
	v_mad_u32_u24 v2, s4, v1, v2
	v_bfe_u32 v0, v0, 20, 10
	v_add_lshl_u32 v0, v2, v0, 3
	v_mov_b32_e32 v6, s12
	v_add_u32_e32 v7, 0x200, v0
	v_pk_mov_b32 v[2:3], s[12:13], s[12:13] op_sel:[0,1]
	v_pk_mov_b32 v[4:5], s[16:17], s[16:17] op_sel:[0,1]
	ds_write2st64_b64 v0, v[4:5], v[2:3] offset1:1
	v_cndmask_b32_e64 v2, v6, v7, s[0:1]
	v_mov_b32_e32 v3, s2
	flat_load_dwordx2 v[4:5], v[2:3]
	s_xor_b64 s[4:5], s[0:1], -1
	v_pk_mov_b32 v[6:7], s[14:15], s[14:15] op_sel:[0,1]
	s_cbranch_vccnz .LBB90_2
; %bb.1:
	v_pk_mov_b32 v[2:3], s[12:13], s[12:13] op_sel:[0,1]
	flat_load_dwordx2 v[6:7], v[2:3] offset:8
.LBB90_2:
	s_and_b64 s[12:13], s[0:1], exec
	s_cselect_b32 s2, s3, s17
	v_mov_b32_e32 v2, s16
	v_cndmask_b32_e64 v2, v2, v0, s[0:1]
	v_mov_b32_e32 v3, s2
	flat_load_dwordx2 v[8:9], v[2:3]
	s_andn2_b64 vcc, exec, s[4:5]
	v_pk_mov_b32 v[10:11], s[18:19], s[18:19] op_sel:[0,1]
	s_cbranch_vccnz .LBB90_4
; %bb.3:
	v_pk_mov_b32 v[2:3], s[16:17], s[16:17] op_sel:[0,1]
	flat_load_dwordx2 v[10:11], v[2:3] offset:8
.LBB90_4:
	s_waitcnt vmcnt(0) lgkmcnt(0)
	v_cmp_eq_f64_e32 vcc, 0, v[4:5]
	v_cmp_eq_f64_e64 s[0:1], 0, v[6:7]
	s_and_b64 s[4:5], vcc, s[0:1]
	s_mov_b64 s[0:1], -1
	s_and_saveexec_b64 s[2:3], s[4:5]
; %bb.5:
	v_cmp_neq_f64_e32 vcc, 1.0, v[8:9]
	v_cmp_neq_f64_e64 s[0:1], 0, v[10:11]
	s_or_b64 s[0:1], vcc, s[0:1]
	s_orn2_b64 s[0:1], s[0:1], exec
; %bb.6:
	s_or_b64 exec, exec, s[2:3]
	s_and_saveexec_b64 s[2:3], s[0:1]
	s_cbranch_execz .LBB90_28
; %bb.7:
	s_load_dwordx2 s[0:1], s[6:7], 0x20
	s_waitcnt lgkmcnt(0)
	s_cmp_eq_u64 s[0:1], 0
	s_cbranch_scc1 .LBB90_9
; %bb.8:
	s_ashr_i32 s9, s8, 31
	s_lshl_b64 s[2:3], s[8:9], 2
	s_add_u32 s0, s0, s2
	s_addc_u32 s1, s1, s3
	s_load_dword s0, s[0:1], 0x0
	s_waitcnt lgkmcnt(0)
	s_sub_i32 s8, s0, s10
.LBB90_9:
	s_load_dword s11, s[6:7], 0x48
	v_lshrrev_b32_e32 v12, 3, v1
	s_waitcnt lgkmcnt(0)
	v_cmp_gt_i32_e32 vcc, s11, v12
	s_and_b64 exec, exec, vcc
	s_cbranch_execz .LBB90_28
; %bb.10:
	s_load_dwordx8 s[12:19], s[6:7], 0x28
	s_ashr_i32 s9, s8, 31
	s_lshl_b64 s[0:1], s[8:9], 2
	s_mul_hi_u32 s31, s11, s11
	s_mul_i32 s33, s11, s11
	s_waitcnt lgkmcnt(0)
	s_add_u32 s2, s12, s0
	s_addc_u32 s3, s13, s1
	s_load_dword s4, s[2:3], 0x0
	s_load_dwordx2 s[12:13], s[6:7], 0x68
	s_load_dwordx2 s[20:21], s[6:7], 0x50
	v_cmp_eq_f64_e32 vcc, 0, v[8:9]
	s_mul_i32 s35, s8, s11
	s_waitcnt lgkmcnt(0)
	s_sub_i32 s30, s4, s10
	s_add_u32 s2, s2, 4
	s_addc_u32 s3, s3, 0
	s_add_u32 s0, s14, s0
	s_addc_u32 s1, s15, s1
	s_cmp_eq_u64 s[14:15], 0
	s_cselect_b32 s1, s3, s1
	s_cselect_b32 s0, s2, s0
	s_load_dword s2, s[0:1], 0x0
	s_load_dword s3, s[6:7], 0x0
	s_mul_hi_u32 s8, s30, s33
	v_and_b32_e32 v14, 7, v1
	s_mov_b64 s[22:23], 0
	s_waitcnt lgkmcnt(0)
	s_sub_i32 s34, s2, s10
	s_cmp_lt_i32 s4, s2
	s_cselect_b64 s[24:25], -1, 0
	s_cmp_lg_u32 s3, 0
	v_cmp_eq_f64_e64 s[4:5], 0, v[10:11]
	s_cselect_b64 s[6:7], -1, 0
	s_and_b64 s[14:15], vcc, s[4:5]
	s_ashr_i32 s4, s30, 31
	s_mul_i32 s5, s30, s31
	s_add_i32 s5, s8, s5
	s_mul_i32 s4, s4, s33
	v_cndmask_b32_e64 v0, 0, 1, s[24:25]
	v_cmp_gt_u32_e64 s[0:1], s11, v14
	v_cmp_eq_u32_e64 s[2:3], 7, v14
	s_add_i32 s36, s5, s4
	s_mul_i32 s37, s30, s33
	v_mul_lo_u32 v24, s11, v12
	s_lshl_b32 s38, s11, 3
	v_mov_b32_e32 v15, 0
	v_mul_lo_u32 v25, s11, v14
	v_cmp_ne_u32_e64 s[4:5], 1, v0
	s_branch .LBB90_12
.LBB90_11:                              ;   in Loop: Header=BB90_12 Depth=1
	s_or_b64 exec, exec, s[8:9]
	v_add_u32_e32 v12, 8, v12
	v_cmp_le_i32_e32 vcc, s11, v12
	s_or_b64 s[22:23], vcc, s[22:23]
	v_add_u32_e32 v24, s38, v24
	s_andn2_b64 exec, exec, s[22:23]
	s_cbranch_execz .LBB90_28
.LBB90_12:                              ; =>This Loop Header: Depth=1
                                        ;     Child Loop BB90_16 Depth 2
                                        ;       Child Loop BB90_19 Depth 3
	v_pk_mov_b32 v[0:1], 0, 0
	s_and_b64 vcc, exec, s[4:5]
	v_pk_mov_b32 v[2:3], v[0:1], v[0:1] op_sel:[0,1]
	s_cbranch_vccnz .LBB90_23
; %bb.13:                               ;   in Loop: Header=BB90_12 Depth=1
	v_ashrrev_i32_e32 v0, 31, v24
	v_mov_b32_e32 v1, s36
	v_add_co_u32_e32 v16, vcc, s37, v24
	v_addc_co_u32_e32 v17, vcc, v1, v0, vcc
	v_pk_mov_b32 v[0:1], 0, 0
	v_ashrrev_i32_e32 v13, 31, v12
	s_mov_b32 s8, s30
	v_pk_mov_b32 v[2:3], v[0:1], v[0:1] op_sel:[0,1]
	s_branch .LBB90_16
.LBB90_14:                              ;   in Loop: Header=BB90_16 Depth=2
	s_or_b64 exec, exec, s[26:27]
.LBB90_15:                              ;   in Loop: Header=BB90_16 Depth=2
	s_or_b64 exec, exec, s[24:25]
	s_add_i32 s8, s8, 1
	v_mov_b32_e32 v18, s31
	v_add_co_u32_e32 v16, vcc, s33, v16
	s_cmp_ge_i32 s8, s34
	v_addc_co_u32_e32 v17, vcc, v17, v18, vcc
	s_cbranch_scc1 .LBB90_23
.LBB90_16:                              ;   Parent Loop BB90_12 Depth=1
                                        ; =>  This Loop Header: Depth=2
                                        ;       Child Loop BB90_19 Depth 3
	s_and_saveexec_b64 s[24:25], s[0:1]
	s_cbranch_execz .LBB90_15
; %bb.17:                               ;   in Loop: Header=BB90_16 Depth=2
	s_ashr_i32 s9, s8, 31
	s_lshl_b64 s[26:27], s[8:9], 2
	s_add_u32 s26, s16, s26
	s_addc_u32 s27, s17, s27
	s_load_dword s26, s[26:27], 0x0
	s_mul_i32 s27, s31, s8
	v_mov_b32_e32 v18, s8
	s_mul_i32 s9, s33, s9
	s_add_i32 s9, s9, s27
	s_waitcnt lgkmcnt(0)
	s_sub_i32 s28, s26, s10
	v_mad_u64_u32 v[18:19], s[26:27], s33, v18, v[12:13]
	v_add_u32_e32 v19, s9, v19
	s_mul_i32 s9, s28, s11
	s_mov_b64 s[26:27], 0
	v_mov_b32_e32 v26, v25
	v_pk_mov_b32 v[20:21], v[14:15], v[14:15] op_sel:[0,1]
	s_branch .LBB90_19
.LBB90_18:                              ;   in Loop: Header=BB90_19 Depth=3
	v_lshlrev_b64 v[22:23], 3, v[22:23]
	v_add_u32_e32 v28, s9, v20
	v_mov_b32_e32 v27, s19
	v_add_co_u32_e32 v22, vcc, s18, v22
	v_ashrrev_i32_e32 v29, 31, v28
	v_addc_co_u32_e32 v23, vcc, v27, v23, vcc
	v_lshlrev_b64 v[28:29], 4, v[28:29]
	v_mov_b32_e32 v27, s21
	v_add_co_u32_e32 v28, vcc, s20, v28
	v_addc_co_u32_e32 v29, vcc, v27, v29, vcc
	global_load_dwordx2 v[22:23], v[22:23], off
	v_add_co_u32_e32 v20, vcc, 8, v20
	global_load_dwordx4 v[28:31], v[28:29], off
	v_addc_co_u32_e32 v21, vcc, 0, v21, vcc
	v_cmp_le_i32_e32 vcc, s11, v20
	s_or_b64 s[26:27], vcc, s[26:27]
	v_add_u32_e32 v26, s38, v26
	s_waitcnt vmcnt(0)
	v_fmac_f64_e32 v[2:3], v[22:23], v[28:29]
	v_fmac_f64_e32 v[0:1], 0, v[28:29]
	;; [unrolled: 1-line block ×4, first 2 shown]
	s_andn2_b64 exec, exec, s[26:27]
	s_cbranch_execz .LBB90_14
.LBB90_19:                              ;   Parent Loop BB90_12 Depth=1
                                        ;     Parent Loop BB90_16 Depth=2
                                        ; =>    This Inner Loop Header: Depth=3
	s_and_b64 vcc, exec, s[6:7]
	s_cbranch_vccz .LBB90_21
; %bb.20:                               ;   in Loop: Header=BB90_19 Depth=3
	v_ashrrev_i32_e32 v23, 31, v26
	v_add_co_u32_e32 v22, vcc, v18, v26
	v_addc_co_u32_e32 v23, vcc, v19, v23, vcc
	s_cbranch_execnz .LBB90_18
	s_branch .LBB90_22
.LBB90_21:                              ;   in Loop: Header=BB90_19 Depth=3
                                        ; implicit-def: $vgpr22_vgpr23
.LBB90_22:                              ;   in Loop: Header=BB90_19 Depth=3
	v_add_co_u32_e32 v22, vcc, v16, v20
	v_addc_co_u32_e32 v23, vcc, v17, v21, vcc
	s_branch .LBB90_18
.LBB90_23:                              ;   in Loop: Header=BB90_12 Depth=1
	s_nop 0
	v_mov_b32_dpp v16, v2 row_shr:1 row_mask:0xf bank_mask:0xf
	v_mov_b32_dpp v17, v3 row_shr:1 row_mask:0xf bank_mask:0xf
	;; [unrolled: 1-line block ×4, first 2 shown]
	v_add_f64 v[2:3], v[2:3], v[16:17]
	v_add_f64 v[0:1], v[0:1], v[18:19]
	s_nop 0
	v_mov_b32_dpp v16, v2 row_shr:2 row_mask:0xf bank_mask:0xf
	v_mov_b32_dpp v17, v3 row_shr:2 row_mask:0xf bank_mask:0xf
	;; [unrolled: 1-line block ×4, first 2 shown]
	v_add_f64 v[2:3], v[2:3], v[16:17]
	v_add_f64 v[0:1], v[0:1], v[18:19]
	s_nop 0
	v_mov_b32_dpp v16, v2 row_shr:4 row_mask:0xf bank_mask:0xe
	v_mov_b32_dpp v17, v3 row_shr:4 row_mask:0xf bank_mask:0xe
	;; [unrolled: 1-line block ×4, first 2 shown]
	s_and_saveexec_b64 s[8:9], s[2:3]
	s_cbranch_execz .LBB90_11
; %bb.24:                               ;   in Loop: Header=BB90_12 Depth=1
	v_add_f64 v[20:21], v[2:3], v[16:17]
	v_add_f64 v[2:3], v[0:1], v[18:19]
	v_mul_f64 v[0:1], v[2:3], -v[6:7]
	v_mul_f64 v[2:3], v[4:5], v[2:3]
	v_add_u32_e32 v16, s35, v12
	v_fmac_f64_e32 v[0:1], v[4:5], v[20:21]
	v_fmac_f64_e32 v[2:3], v[6:7], v[20:21]
	v_ashrrev_i32_e32 v17, 31, v16
	s_and_saveexec_b64 s[24:25], s[14:15]
	s_xor_b64 s[24:25], exec, s[24:25]
	s_cbranch_execz .LBB90_26
; %bb.25:                               ;   in Loop: Header=BB90_12 Depth=1
	v_lshlrev_b64 v[16:17], 4, v[16:17]
	v_mov_b32_e32 v13, s13
	v_add_co_u32_e32 v16, vcc, s12, v16
	v_addc_co_u32_e32 v17, vcc, v13, v17, vcc
	global_store_dwordx4 v[16:17], v[0:3], off
                                        ; implicit-def: $vgpr16
                                        ; implicit-def: $vgpr0_vgpr1
.LBB90_26:                              ;   in Loop: Header=BB90_12 Depth=1
	s_andn2_saveexec_b64 s[24:25], s[24:25]
	s_cbranch_execz .LBB90_11
; %bb.27:                               ;   in Loop: Header=BB90_12 Depth=1
	v_lshlrev_b64 v[16:17], 4, v[16:17]
	v_mov_b32_e32 v13, s13
	v_add_co_u32_e32 v20, vcc, s12, v16
	v_addc_co_u32_e32 v21, vcc, v13, v17, vcc
	global_load_dwordx4 v[16:19], v[20:21], off
	s_waitcnt vmcnt(0)
	v_fmac_f64_e32 v[0:1], v[8:9], v[16:17]
	v_fmac_f64_e32 v[2:3], v[10:11], v[16:17]
	v_fma_f64 v[0:1], -v[10:11], v[18:19], v[0:1]
	v_fmac_f64_e32 v[2:3], v[8:9], v[18:19]
	global_store_dwordx4 v[20:21], v[0:3], off
	s_branch .LBB90_11
.LBB90_28:
	s_endpgm
	.section	.rodata,"a",@progbits
	.p2align	6, 0x0
	.amdhsa_kernel _ZN9rocsparseL22bsrxmvn_general_kernelILj64ELj8E21rocsparse_complex_numIdEiidS2_S2_EEv20rocsparse_direction_NS_24const_host_device_scalarIT1_EET3_PKS7_PKT2_SC_S9_PKT4_S7_PKT5_S6_PT6_21rocsparse_index_base_b
		.amdhsa_group_segment_fixed_size 1024
		.amdhsa_private_segment_fixed_size 0
		.amdhsa_kernarg_size 120
		.amdhsa_user_sgpr_count 8
		.amdhsa_user_sgpr_private_segment_buffer 1
		.amdhsa_user_sgpr_dispatch_ptr 1
		.amdhsa_user_sgpr_queue_ptr 0
		.amdhsa_user_sgpr_kernarg_segment_ptr 1
		.amdhsa_user_sgpr_dispatch_id 0
		.amdhsa_user_sgpr_flat_scratch_init 0
		.amdhsa_user_sgpr_kernarg_preload_length 0
		.amdhsa_user_sgpr_kernarg_preload_offset 0
		.amdhsa_user_sgpr_private_segment_size 0
		.amdhsa_uses_dynamic_stack 0
		.amdhsa_system_sgpr_private_segment_wavefront_offset 0
		.amdhsa_system_sgpr_workgroup_id_x 1
		.amdhsa_system_sgpr_workgroup_id_y 0
		.amdhsa_system_sgpr_workgroup_id_z 0
		.amdhsa_system_sgpr_workgroup_info 0
		.amdhsa_system_vgpr_workitem_id 2
		.amdhsa_next_free_vgpr 32
		.amdhsa_next_free_sgpr 39
		.amdhsa_accum_offset 32
		.amdhsa_reserve_vcc 1
		.amdhsa_reserve_flat_scratch 0
		.amdhsa_float_round_mode_32 0
		.amdhsa_float_round_mode_16_64 0
		.amdhsa_float_denorm_mode_32 3
		.amdhsa_float_denorm_mode_16_64 3
		.amdhsa_dx10_clamp 1
		.amdhsa_ieee_mode 1
		.amdhsa_fp16_overflow 0
		.amdhsa_tg_split 0
		.amdhsa_exception_fp_ieee_invalid_op 0
		.amdhsa_exception_fp_denorm_src 0
		.amdhsa_exception_fp_ieee_div_zero 0
		.amdhsa_exception_fp_ieee_overflow 0
		.amdhsa_exception_fp_ieee_underflow 0
		.amdhsa_exception_fp_ieee_inexact 0
		.amdhsa_exception_int_div_zero 0
	.end_amdhsa_kernel
	.section	.text._ZN9rocsparseL22bsrxmvn_general_kernelILj64ELj8E21rocsparse_complex_numIdEiidS2_S2_EEv20rocsparse_direction_NS_24const_host_device_scalarIT1_EET3_PKS7_PKT2_SC_S9_PKT4_S7_PKT5_S6_PT6_21rocsparse_index_base_b,"axG",@progbits,_ZN9rocsparseL22bsrxmvn_general_kernelILj64ELj8E21rocsparse_complex_numIdEiidS2_S2_EEv20rocsparse_direction_NS_24const_host_device_scalarIT1_EET3_PKS7_PKT2_SC_S9_PKT4_S7_PKT5_S6_PT6_21rocsparse_index_base_b,comdat
.Lfunc_end90:
	.size	_ZN9rocsparseL22bsrxmvn_general_kernelILj64ELj8E21rocsparse_complex_numIdEiidS2_S2_EEv20rocsparse_direction_NS_24const_host_device_scalarIT1_EET3_PKS7_PKT2_SC_S9_PKT4_S7_PKT5_S6_PT6_21rocsparse_index_base_b, .Lfunc_end90-_ZN9rocsparseL22bsrxmvn_general_kernelILj64ELj8E21rocsparse_complex_numIdEiidS2_S2_EEv20rocsparse_direction_NS_24const_host_device_scalarIT1_EET3_PKS7_PKT2_SC_S9_PKT4_S7_PKT5_S6_PT6_21rocsparse_index_base_b
                                        ; -- End function
	.section	.AMDGPU.csdata,"",@progbits
; Kernel info:
; codeLenInByte = 1340
; NumSgprs: 43
; NumVgprs: 32
; NumAgprs: 0
; TotalNumVgprs: 32
; ScratchSize: 0
; MemoryBound: 0
; FloatMode: 240
; IeeeMode: 1
; LDSByteSize: 1024 bytes/workgroup (compile time only)
; SGPRBlocks: 5
; VGPRBlocks: 3
; NumSGPRsForWavesPerEU: 43
; NumVGPRsForWavesPerEU: 32
; AccumOffset: 32
; Occupancy: 8
; WaveLimiterHint : 1
; COMPUTE_PGM_RSRC2:SCRATCH_EN: 0
; COMPUTE_PGM_RSRC2:USER_SGPR: 8
; COMPUTE_PGM_RSRC2:TRAP_HANDLER: 0
; COMPUTE_PGM_RSRC2:TGID_X_EN: 1
; COMPUTE_PGM_RSRC2:TGID_Y_EN: 0
; COMPUTE_PGM_RSRC2:TGID_Z_EN: 0
; COMPUTE_PGM_RSRC2:TIDIG_COMP_CNT: 2
; COMPUTE_PGM_RSRC3_GFX90A:ACCUM_OFFSET: 7
; COMPUTE_PGM_RSRC3_GFX90A:TG_SPLIT: 0
	.section	.text._ZN9rocsparseL22bsrxmvn_general_kernelILj256ELj16E21rocsparse_complex_numIdEiidS2_S2_EEv20rocsparse_direction_NS_24const_host_device_scalarIT1_EET3_PKS7_PKT2_SC_S9_PKT4_S7_PKT5_S6_PT6_21rocsparse_index_base_b,"axG",@progbits,_ZN9rocsparseL22bsrxmvn_general_kernelILj256ELj16E21rocsparse_complex_numIdEiidS2_S2_EEv20rocsparse_direction_NS_24const_host_device_scalarIT1_EET3_PKS7_PKT2_SC_S9_PKT4_S7_PKT5_S6_PT6_21rocsparse_index_base_b,comdat
	.globl	_ZN9rocsparseL22bsrxmvn_general_kernelILj256ELj16E21rocsparse_complex_numIdEiidS2_S2_EEv20rocsparse_direction_NS_24const_host_device_scalarIT1_EET3_PKS7_PKT2_SC_S9_PKT4_S7_PKT5_S6_PT6_21rocsparse_index_base_b ; -- Begin function _ZN9rocsparseL22bsrxmvn_general_kernelILj256ELj16E21rocsparse_complex_numIdEiidS2_S2_EEv20rocsparse_direction_NS_24const_host_device_scalarIT1_EET3_PKS7_PKT2_SC_S9_PKT4_S7_PKT5_S6_PT6_21rocsparse_index_base_b
	.p2align	8
	.type	_ZN9rocsparseL22bsrxmvn_general_kernelILj256ELj16E21rocsparse_complex_numIdEiidS2_S2_EEv20rocsparse_direction_NS_24const_host_device_scalarIT1_EET3_PKS7_PKT2_SC_S9_PKT4_S7_PKT5_S6_PT6_21rocsparse_index_base_b,@function
_ZN9rocsparseL22bsrxmvn_general_kernelILj256ELj16E21rocsparse_complex_numIdEiidS2_S2_EEv20rocsparse_direction_NS_24const_host_device_scalarIT1_EET3_PKS7_PKT2_SC_S9_PKT4_S7_PKT5_S6_PT6_21rocsparse_index_base_b: ; @_ZN9rocsparseL22bsrxmvn_general_kernelILj256ELj16E21rocsparse_complex_numIdEiidS2_S2_EEv20rocsparse_direction_NS_24const_host_device_scalarIT1_EET3_PKS7_PKT2_SC_S9_PKT4_S7_PKT5_S6_PT6_21rocsparse_index_base_b
; %bb.0:
	s_load_dwordx2 s[10:11], s[6:7], 0x70
	s_load_dwordx4 s[12:15], s[6:7], 0x8
	s_load_dwordx2 s[20:21], s[4:5], 0x4
	s_load_dwordx4 s[16:19], s[6:7], 0x58
	s_mov_b64 s[2:3], src_shared_base
	v_and_b32_e32 v1, 0x3ff, v0
	s_waitcnt lgkmcnt(0)
	s_bitcmp1_b32 s11, 0
	s_cselect_b64 s[0:1], -1, 0
	s_and_b64 vcc, s[0:1], exec
	s_cselect_b32 s2, s3, s13
	s_lshr_b32 s4, s20, 16
	s_mul_i32 s4, s4, s21
	v_mul_lo_u32 v2, s4, v1
	v_bfe_u32 v3, v0, 10, 10
	v_mad_u32_u24 v2, v3, s21, v2
	v_bfe_u32 v0, v0, 20, 10
	v_add_lshl_u32 v0, v2, v0, 3
	v_mov_b32_e32 v6, s12
	v_add_u32_e32 v7, 0x800, v0
	v_pk_mov_b32 v[2:3], s[12:13], s[12:13] op_sel:[0,1]
	v_pk_mov_b32 v[4:5], s[16:17], s[16:17] op_sel:[0,1]
	ds_write2st64_b64 v0, v[4:5], v[2:3] offset1:4
	v_cndmask_b32_e64 v2, v6, v7, s[0:1]
	v_mov_b32_e32 v3, s2
	flat_load_dwordx2 v[4:5], v[2:3]
	s_xor_b64 s[4:5], s[0:1], -1
	v_pk_mov_b32 v[6:7], s[14:15], s[14:15] op_sel:[0,1]
	s_cbranch_vccnz .LBB91_2
; %bb.1:
	v_pk_mov_b32 v[2:3], s[12:13], s[12:13] op_sel:[0,1]
	flat_load_dwordx2 v[6:7], v[2:3] offset:8
.LBB91_2:
	s_and_b64 s[12:13], s[0:1], exec
	s_cselect_b32 s2, s3, s17
	v_mov_b32_e32 v2, s16
	v_cndmask_b32_e64 v2, v2, v0, s[0:1]
	v_mov_b32_e32 v3, s2
	flat_load_dwordx2 v[8:9], v[2:3]
	s_andn2_b64 vcc, exec, s[4:5]
	v_pk_mov_b32 v[10:11], s[18:19], s[18:19] op_sel:[0,1]
	s_cbranch_vccnz .LBB91_4
; %bb.3:
	v_pk_mov_b32 v[2:3], s[16:17], s[16:17] op_sel:[0,1]
	flat_load_dwordx2 v[10:11], v[2:3] offset:8
.LBB91_4:
	s_waitcnt vmcnt(0) lgkmcnt(0)
	v_cmp_eq_f64_e32 vcc, 0, v[4:5]
	v_cmp_eq_f64_e64 s[0:1], 0, v[6:7]
	s_and_b64 s[4:5], vcc, s[0:1]
	s_mov_b64 s[0:1], -1
	s_and_saveexec_b64 s[2:3], s[4:5]
; %bb.5:
	v_cmp_neq_f64_e32 vcc, 1.0, v[8:9]
	v_cmp_neq_f64_e64 s[0:1], 0, v[10:11]
	s_or_b64 s[0:1], vcc, s[0:1]
	s_orn2_b64 s[0:1], s[0:1], exec
; %bb.6:
	s_or_b64 exec, exec, s[2:3]
	s_and_saveexec_b64 s[2:3], s[0:1]
	s_cbranch_execz .LBB91_28
; %bb.7:
	s_load_dwordx2 s[0:1], s[6:7], 0x20
	s_waitcnt lgkmcnt(0)
	s_cmp_eq_u64 s[0:1], 0
	s_cbranch_scc1 .LBB91_9
; %bb.8:
	s_ashr_i32 s9, s8, 31
	s_lshl_b64 s[2:3], s[8:9], 2
	s_add_u32 s0, s0, s2
	s_addc_u32 s1, s1, s3
	s_load_dword s0, s[0:1], 0x0
	s_waitcnt lgkmcnt(0)
	s_sub_i32 s8, s0, s10
.LBB91_9:
	s_load_dword s11, s[6:7], 0x48
	v_lshrrev_b32_e32 v12, 4, v1
	s_waitcnt lgkmcnt(0)
	v_cmp_gt_i32_e32 vcc, s11, v12
	s_and_b64 exec, exec, vcc
	s_cbranch_execz .LBB91_28
; %bb.10:
	s_load_dwordx8 s[12:19], s[6:7], 0x28
	s_ashr_i32 s9, s8, 31
	s_lshl_b64 s[0:1], s[8:9], 2
	s_mul_hi_u32 s31, s11, s11
	s_mul_i32 s33, s11, s11
	s_waitcnt lgkmcnt(0)
	s_add_u32 s2, s12, s0
	s_addc_u32 s3, s13, s1
	s_load_dword s4, s[2:3], 0x0
	s_load_dwordx2 s[12:13], s[6:7], 0x68
	s_load_dwordx2 s[20:21], s[6:7], 0x50
	v_cmp_eq_f64_e32 vcc, 0, v[8:9]
	s_mul_i32 s35, s8, s11
	s_waitcnt lgkmcnt(0)
	s_sub_i32 s30, s4, s10
	s_add_u32 s2, s2, 4
	s_addc_u32 s3, s3, 0
	s_add_u32 s0, s14, s0
	s_addc_u32 s1, s15, s1
	s_cmp_eq_u64 s[14:15], 0
	s_cselect_b32 s1, s3, s1
	s_cselect_b32 s0, s2, s0
	s_load_dword s2, s[0:1], 0x0
	s_load_dword s3, s[6:7], 0x0
	s_mul_hi_u32 s8, s30, s33
	v_and_b32_e32 v14, 15, v1
	s_mov_b64 s[22:23], 0
	s_waitcnt lgkmcnt(0)
	s_sub_i32 s34, s2, s10
	s_cmp_lt_i32 s4, s2
	s_cselect_b64 s[24:25], -1, 0
	s_cmp_lg_u32 s3, 0
	v_cmp_eq_f64_e64 s[4:5], 0, v[10:11]
	s_cselect_b64 s[6:7], -1, 0
	s_and_b64 s[14:15], vcc, s[4:5]
	s_ashr_i32 s4, s30, 31
	s_mul_i32 s5, s30, s31
	s_add_i32 s5, s8, s5
	s_mul_i32 s4, s4, s33
	v_cndmask_b32_e64 v0, 0, 1, s[24:25]
	v_cmp_gt_u32_e64 s[0:1], s11, v14
	v_cmp_eq_u32_e64 s[2:3], 15, v14
	s_add_i32 s36, s5, s4
	s_mul_i32 s37, s30, s33
	v_mul_lo_u32 v24, s11, v12
	s_lshl_b32 s38, s11, 4
	v_mov_b32_e32 v15, 0
	v_mul_lo_u32 v25, s11, v14
	v_cmp_ne_u32_e64 s[4:5], 1, v0
	s_branch .LBB91_12
.LBB91_11:                              ;   in Loop: Header=BB91_12 Depth=1
	s_or_b64 exec, exec, s[8:9]
	v_add_u32_e32 v12, 16, v12
	v_cmp_le_i32_e32 vcc, s11, v12
	s_or_b64 s[22:23], vcc, s[22:23]
	v_add_u32_e32 v24, s38, v24
	s_andn2_b64 exec, exec, s[22:23]
	s_cbranch_execz .LBB91_28
.LBB91_12:                              ; =>This Loop Header: Depth=1
                                        ;     Child Loop BB91_16 Depth 2
                                        ;       Child Loop BB91_19 Depth 3
	v_pk_mov_b32 v[0:1], 0, 0
	s_and_b64 vcc, exec, s[4:5]
	v_pk_mov_b32 v[2:3], v[0:1], v[0:1] op_sel:[0,1]
	s_cbranch_vccnz .LBB91_23
; %bb.13:                               ;   in Loop: Header=BB91_12 Depth=1
	v_ashrrev_i32_e32 v0, 31, v24
	v_mov_b32_e32 v1, s36
	v_add_co_u32_e32 v16, vcc, s37, v24
	v_addc_co_u32_e32 v17, vcc, v1, v0, vcc
	v_pk_mov_b32 v[0:1], 0, 0
	v_ashrrev_i32_e32 v13, 31, v12
	s_mov_b32 s8, s30
	v_pk_mov_b32 v[2:3], v[0:1], v[0:1] op_sel:[0,1]
	s_branch .LBB91_16
.LBB91_14:                              ;   in Loop: Header=BB91_16 Depth=2
	s_or_b64 exec, exec, s[26:27]
.LBB91_15:                              ;   in Loop: Header=BB91_16 Depth=2
	s_or_b64 exec, exec, s[24:25]
	s_add_i32 s8, s8, 1
	v_mov_b32_e32 v18, s31
	v_add_co_u32_e32 v16, vcc, s33, v16
	s_cmp_ge_i32 s8, s34
	v_addc_co_u32_e32 v17, vcc, v17, v18, vcc
	s_cbranch_scc1 .LBB91_23
.LBB91_16:                              ;   Parent Loop BB91_12 Depth=1
                                        ; =>  This Loop Header: Depth=2
                                        ;       Child Loop BB91_19 Depth 3
	s_and_saveexec_b64 s[24:25], s[0:1]
	s_cbranch_execz .LBB91_15
; %bb.17:                               ;   in Loop: Header=BB91_16 Depth=2
	s_ashr_i32 s9, s8, 31
	s_lshl_b64 s[26:27], s[8:9], 2
	s_add_u32 s26, s16, s26
	s_addc_u32 s27, s17, s27
	s_load_dword s26, s[26:27], 0x0
	s_mul_i32 s27, s31, s8
	v_mov_b32_e32 v18, s8
	s_mul_i32 s9, s33, s9
	s_add_i32 s9, s9, s27
	s_waitcnt lgkmcnt(0)
	s_sub_i32 s28, s26, s10
	v_mad_u64_u32 v[18:19], s[26:27], s33, v18, v[12:13]
	v_add_u32_e32 v19, s9, v19
	s_mul_i32 s9, s28, s11
	s_mov_b64 s[26:27], 0
	v_mov_b32_e32 v26, v25
	v_pk_mov_b32 v[20:21], v[14:15], v[14:15] op_sel:[0,1]
	s_branch .LBB91_19
.LBB91_18:                              ;   in Loop: Header=BB91_19 Depth=3
	v_lshlrev_b64 v[22:23], 3, v[22:23]
	v_add_u32_e32 v28, s9, v20
	v_mov_b32_e32 v27, s19
	v_add_co_u32_e32 v22, vcc, s18, v22
	v_ashrrev_i32_e32 v29, 31, v28
	v_addc_co_u32_e32 v23, vcc, v27, v23, vcc
	v_lshlrev_b64 v[28:29], 4, v[28:29]
	v_mov_b32_e32 v27, s21
	v_add_co_u32_e32 v28, vcc, s20, v28
	v_addc_co_u32_e32 v29, vcc, v27, v29, vcc
	global_load_dwordx2 v[22:23], v[22:23], off
	v_add_co_u32_e32 v20, vcc, 16, v20
	global_load_dwordx4 v[28:31], v[28:29], off
	v_addc_co_u32_e32 v21, vcc, 0, v21, vcc
	v_cmp_le_i32_e32 vcc, s11, v20
	s_or_b64 s[26:27], vcc, s[26:27]
	v_add_u32_e32 v26, s38, v26
	s_waitcnt vmcnt(0)
	v_fmac_f64_e32 v[2:3], v[22:23], v[28:29]
	v_fmac_f64_e32 v[0:1], 0, v[28:29]
	;; [unrolled: 1-line block ×4, first 2 shown]
	s_andn2_b64 exec, exec, s[26:27]
	s_cbranch_execz .LBB91_14
.LBB91_19:                              ;   Parent Loop BB91_12 Depth=1
                                        ;     Parent Loop BB91_16 Depth=2
                                        ; =>    This Inner Loop Header: Depth=3
	s_and_b64 vcc, exec, s[6:7]
	s_cbranch_vccz .LBB91_21
; %bb.20:                               ;   in Loop: Header=BB91_19 Depth=3
	v_ashrrev_i32_e32 v23, 31, v26
	v_add_co_u32_e32 v22, vcc, v18, v26
	v_addc_co_u32_e32 v23, vcc, v19, v23, vcc
	s_cbranch_execnz .LBB91_18
	s_branch .LBB91_22
.LBB91_21:                              ;   in Loop: Header=BB91_19 Depth=3
                                        ; implicit-def: $vgpr22_vgpr23
.LBB91_22:                              ;   in Loop: Header=BB91_19 Depth=3
	v_add_co_u32_e32 v22, vcc, v16, v20
	v_addc_co_u32_e32 v23, vcc, v17, v21, vcc
	s_branch .LBB91_18
.LBB91_23:                              ;   in Loop: Header=BB91_12 Depth=1
	s_nop 0
	v_mov_b32_dpp v16, v2 row_shr:1 row_mask:0xf bank_mask:0xf
	v_mov_b32_dpp v17, v3 row_shr:1 row_mask:0xf bank_mask:0xf
	v_mov_b32_dpp v18, v0 row_shr:1 row_mask:0xf bank_mask:0xf
	v_mov_b32_dpp v19, v1 row_shr:1 row_mask:0xf bank_mask:0xf
	v_add_f64 v[2:3], v[2:3], v[16:17]
	v_add_f64 v[0:1], v[0:1], v[18:19]
	s_nop 0
	v_mov_b32_dpp v16, v2 row_shr:2 row_mask:0xf bank_mask:0xf
	v_mov_b32_dpp v17, v3 row_shr:2 row_mask:0xf bank_mask:0xf
	v_mov_b32_dpp v18, v0 row_shr:2 row_mask:0xf bank_mask:0xf
	v_mov_b32_dpp v19, v1 row_shr:2 row_mask:0xf bank_mask:0xf
	v_add_f64 v[2:3], v[2:3], v[16:17]
	v_add_f64 v[0:1], v[0:1], v[18:19]
	;; [unrolled: 7-line block ×3, first 2 shown]
	s_nop 0
	v_mov_b32_dpp v16, v2 row_shr:8 row_mask:0xf bank_mask:0xc
	v_mov_b32_dpp v17, v3 row_shr:8 row_mask:0xf bank_mask:0xc
	;; [unrolled: 1-line block ×4, first 2 shown]
	s_and_saveexec_b64 s[8:9], s[2:3]
	s_cbranch_execz .LBB91_11
; %bb.24:                               ;   in Loop: Header=BB91_12 Depth=1
	v_add_f64 v[20:21], v[2:3], v[16:17]
	v_add_f64 v[2:3], v[0:1], v[18:19]
	v_mul_f64 v[0:1], v[2:3], -v[6:7]
	v_mul_f64 v[2:3], v[4:5], v[2:3]
	v_add_u32_e32 v16, s35, v12
	v_fmac_f64_e32 v[0:1], v[4:5], v[20:21]
	v_fmac_f64_e32 v[2:3], v[6:7], v[20:21]
	v_ashrrev_i32_e32 v17, 31, v16
	s_and_saveexec_b64 s[24:25], s[14:15]
	s_xor_b64 s[24:25], exec, s[24:25]
	s_cbranch_execz .LBB91_26
; %bb.25:                               ;   in Loop: Header=BB91_12 Depth=1
	v_lshlrev_b64 v[16:17], 4, v[16:17]
	v_mov_b32_e32 v13, s13
	v_add_co_u32_e32 v16, vcc, s12, v16
	v_addc_co_u32_e32 v17, vcc, v13, v17, vcc
	global_store_dwordx4 v[16:17], v[0:3], off
                                        ; implicit-def: $vgpr16
                                        ; implicit-def: $vgpr0_vgpr1
.LBB91_26:                              ;   in Loop: Header=BB91_12 Depth=1
	s_andn2_saveexec_b64 s[24:25], s[24:25]
	s_cbranch_execz .LBB91_11
; %bb.27:                               ;   in Loop: Header=BB91_12 Depth=1
	v_lshlrev_b64 v[16:17], 4, v[16:17]
	v_mov_b32_e32 v13, s13
	v_add_co_u32_e32 v20, vcc, s12, v16
	v_addc_co_u32_e32 v21, vcc, v13, v17, vcc
	global_load_dwordx4 v[16:19], v[20:21], off
	s_waitcnt vmcnt(0)
	v_fmac_f64_e32 v[0:1], v[8:9], v[16:17]
	v_fmac_f64_e32 v[2:3], v[10:11], v[16:17]
	v_fma_f64 v[0:1], -v[10:11], v[18:19], v[0:1]
	v_fmac_f64_e32 v[2:3], v[8:9], v[18:19]
	global_store_dwordx4 v[20:21], v[0:3], off
	s_branch .LBB91_11
.LBB91_28:
	s_endpgm
	.section	.rodata,"a",@progbits
	.p2align	6, 0x0
	.amdhsa_kernel _ZN9rocsparseL22bsrxmvn_general_kernelILj256ELj16E21rocsparse_complex_numIdEiidS2_S2_EEv20rocsparse_direction_NS_24const_host_device_scalarIT1_EET3_PKS7_PKT2_SC_S9_PKT4_S7_PKT5_S6_PT6_21rocsparse_index_base_b
		.amdhsa_group_segment_fixed_size 4096
		.amdhsa_private_segment_fixed_size 0
		.amdhsa_kernarg_size 120
		.amdhsa_user_sgpr_count 8
		.amdhsa_user_sgpr_private_segment_buffer 1
		.amdhsa_user_sgpr_dispatch_ptr 1
		.amdhsa_user_sgpr_queue_ptr 0
		.amdhsa_user_sgpr_kernarg_segment_ptr 1
		.amdhsa_user_sgpr_dispatch_id 0
		.amdhsa_user_sgpr_flat_scratch_init 0
		.amdhsa_user_sgpr_kernarg_preload_length 0
		.amdhsa_user_sgpr_kernarg_preload_offset 0
		.amdhsa_user_sgpr_private_segment_size 0
		.amdhsa_uses_dynamic_stack 0
		.amdhsa_system_sgpr_private_segment_wavefront_offset 0
		.amdhsa_system_sgpr_workgroup_id_x 1
		.amdhsa_system_sgpr_workgroup_id_y 0
		.amdhsa_system_sgpr_workgroup_id_z 0
		.amdhsa_system_sgpr_workgroup_info 0
		.amdhsa_system_vgpr_workitem_id 2
		.amdhsa_next_free_vgpr 32
		.amdhsa_next_free_sgpr 39
		.amdhsa_accum_offset 32
		.amdhsa_reserve_vcc 1
		.amdhsa_reserve_flat_scratch 0
		.amdhsa_float_round_mode_32 0
		.amdhsa_float_round_mode_16_64 0
		.amdhsa_float_denorm_mode_32 3
		.amdhsa_float_denorm_mode_16_64 3
		.amdhsa_dx10_clamp 1
		.amdhsa_ieee_mode 1
		.amdhsa_fp16_overflow 0
		.amdhsa_tg_split 0
		.amdhsa_exception_fp_ieee_invalid_op 0
		.amdhsa_exception_fp_denorm_src 0
		.amdhsa_exception_fp_ieee_div_zero 0
		.amdhsa_exception_fp_ieee_overflow 0
		.amdhsa_exception_fp_ieee_underflow 0
		.amdhsa_exception_fp_ieee_inexact 0
		.amdhsa_exception_int_div_zero 0
	.end_amdhsa_kernel
	.section	.text._ZN9rocsparseL22bsrxmvn_general_kernelILj256ELj16E21rocsparse_complex_numIdEiidS2_S2_EEv20rocsparse_direction_NS_24const_host_device_scalarIT1_EET3_PKS7_PKT2_SC_S9_PKT4_S7_PKT5_S6_PT6_21rocsparse_index_base_b,"axG",@progbits,_ZN9rocsparseL22bsrxmvn_general_kernelILj256ELj16E21rocsparse_complex_numIdEiidS2_S2_EEv20rocsparse_direction_NS_24const_host_device_scalarIT1_EET3_PKS7_PKT2_SC_S9_PKT4_S7_PKT5_S6_PT6_21rocsparse_index_base_b,comdat
.Lfunc_end91:
	.size	_ZN9rocsparseL22bsrxmvn_general_kernelILj256ELj16E21rocsparse_complex_numIdEiidS2_S2_EEv20rocsparse_direction_NS_24const_host_device_scalarIT1_EET3_PKS7_PKT2_SC_S9_PKT4_S7_PKT5_S6_PT6_21rocsparse_index_base_b, .Lfunc_end91-_ZN9rocsparseL22bsrxmvn_general_kernelILj256ELj16E21rocsparse_complex_numIdEiidS2_S2_EEv20rocsparse_direction_NS_24const_host_device_scalarIT1_EET3_PKS7_PKT2_SC_S9_PKT4_S7_PKT5_S6_PT6_21rocsparse_index_base_b
                                        ; -- End function
	.section	.AMDGPU.csdata,"",@progbits
; Kernel info:
; codeLenInByte = 1396
; NumSgprs: 43
; NumVgprs: 32
; NumAgprs: 0
; TotalNumVgprs: 32
; ScratchSize: 0
; MemoryBound: 0
; FloatMode: 240
; IeeeMode: 1
; LDSByteSize: 4096 bytes/workgroup (compile time only)
; SGPRBlocks: 5
; VGPRBlocks: 3
; NumSGPRsForWavesPerEU: 43
; NumVGPRsForWavesPerEU: 32
; AccumOffset: 32
; Occupancy: 8
; WaveLimiterHint : 1
; COMPUTE_PGM_RSRC2:SCRATCH_EN: 0
; COMPUTE_PGM_RSRC2:USER_SGPR: 8
; COMPUTE_PGM_RSRC2:TRAP_HANDLER: 0
; COMPUTE_PGM_RSRC2:TGID_X_EN: 1
; COMPUTE_PGM_RSRC2:TGID_Y_EN: 0
; COMPUTE_PGM_RSRC2:TGID_Z_EN: 0
; COMPUTE_PGM_RSRC2:TIDIG_COMP_CNT: 2
; COMPUTE_PGM_RSRC3_GFX90A:ACCUM_OFFSET: 7
; COMPUTE_PGM_RSRC3_GFX90A:TG_SPLIT: 0
	.section	.text._ZN9rocsparseL22bsrxmvn_general_kernelILj1024ELj32E21rocsparse_complex_numIdEiidS2_S2_EEv20rocsparse_direction_NS_24const_host_device_scalarIT1_EET3_PKS7_PKT2_SC_S9_PKT4_S7_PKT5_S6_PT6_21rocsparse_index_base_b,"axG",@progbits,_ZN9rocsparseL22bsrxmvn_general_kernelILj1024ELj32E21rocsparse_complex_numIdEiidS2_S2_EEv20rocsparse_direction_NS_24const_host_device_scalarIT1_EET3_PKS7_PKT2_SC_S9_PKT4_S7_PKT5_S6_PT6_21rocsparse_index_base_b,comdat
	.globl	_ZN9rocsparseL22bsrxmvn_general_kernelILj1024ELj32E21rocsparse_complex_numIdEiidS2_S2_EEv20rocsparse_direction_NS_24const_host_device_scalarIT1_EET3_PKS7_PKT2_SC_S9_PKT4_S7_PKT5_S6_PT6_21rocsparse_index_base_b ; -- Begin function _ZN9rocsparseL22bsrxmvn_general_kernelILj1024ELj32E21rocsparse_complex_numIdEiidS2_S2_EEv20rocsparse_direction_NS_24const_host_device_scalarIT1_EET3_PKS7_PKT2_SC_S9_PKT4_S7_PKT5_S6_PT6_21rocsparse_index_base_b
	.p2align	8
	.type	_ZN9rocsparseL22bsrxmvn_general_kernelILj1024ELj32E21rocsparse_complex_numIdEiidS2_S2_EEv20rocsparse_direction_NS_24const_host_device_scalarIT1_EET3_PKS7_PKT2_SC_S9_PKT4_S7_PKT5_S6_PT6_21rocsparse_index_base_b,@function
_ZN9rocsparseL22bsrxmvn_general_kernelILj1024ELj32E21rocsparse_complex_numIdEiidS2_S2_EEv20rocsparse_direction_NS_24const_host_device_scalarIT1_EET3_PKS7_PKT2_SC_S9_PKT4_S7_PKT5_S6_PT6_21rocsparse_index_base_b: ; @_ZN9rocsparseL22bsrxmvn_general_kernelILj1024ELj32E21rocsparse_complex_numIdEiidS2_S2_EEv20rocsparse_direction_NS_24const_host_device_scalarIT1_EET3_PKS7_PKT2_SC_S9_PKT4_S7_PKT5_S6_PT6_21rocsparse_index_base_b
; %bb.0:
	s_load_dwordx2 s[10:11], s[6:7], 0x70
	s_load_dwordx4 s[12:15], s[6:7], 0x8
	s_load_dwordx2 s[20:21], s[4:5], 0x4
	s_load_dwordx4 s[16:19], s[6:7], 0x58
	s_mov_b64 s[2:3], src_shared_base
	v_and_b32_e32 v1, 0x3ff, v0
	s_waitcnt lgkmcnt(0)
	s_bitcmp1_b32 s11, 0
	s_cselect_b64 s[0:1], -1, 0
	s_and_b64 vcc, s[0:1], exec
	s_cselect_b32 s2, s3, s13
	s_lshr_b32 s4, s20, 16
	s_mul_i32 s4, s4, s21
	v_mul_lo_u32 v2, s4, v1
	v_bfe_u32 v3, v0, 10, 10
	v_mad_u32_u24 v2, v3, s21, v2
	v_bfe_u32 v0, v0, 20, 10
	v_add_lshl_u32 v0, v2, v0, 3
	v_mov_b32_e32 v6, s12
	v_add_u32_e32 v7, 0x2000, v0
	v_pk_mov_b32 v[2:3], s[12:13], s[12:13] op_sel:[0,1]
	v_pk_mov_b32 v[4:5], s[16:17], s[16:17] op_sel:[0,1]
	ds_write2st64_b64 v0, v[4:5], v[2:3] offset1:16
	v_cndmask_b32_e64 v2, v6, v7, s[0:1]
	v_mov_b32_e32 v3, s2
	flat_load_dwordx2 v[4:5], v[2:3]
	s_xor_b64 s[4:5], s[0:1], -1
	v_pk_mov_b32 v[6:7], s[14:15], s[14:15] op_sel:[0,1]
	s_cbranch_vccnz .LBB92_2
; %bb.1:
	v_pk_mov_b32 v[2:3], s[12:13], s[12:13] op_sel:[0,1]
	flat_load_dwordx2 v[6:7], v[2:3] offset:8
.LBB92_2:
	s_and_b64 s[12:13], s[0:1], exec
	s_cselect_b32 s2, s3, s17
	v_mov_b32_e32 v2, s16
	v_cndmask_b32_e64 v2, v2, v0, s[0:1]
	v_mov_b32_e32 v3, s2
	flat_load_dwordx2 v[8:9], v[2:3]
	s_andn2_b64 vcc, exec, s[4:5]
	v_pk_mov_b32 v[10:11], s[18:19], s[18:19] op_sel:[0,1]
	s_cbranch_vccnz .LBB92_4
; %bb.3:
	v_pk_mov_b32 v[2:3], s[16:17], s[16:17] op_sel:[0,1]
	flat_load_dwordx2 v[10:11], v[2:3] offset:8
.LBB92_4:
	s_waitcnt vmcnt(0) lgkmcnt(0)
	v_cmp_eq_f64_e32 vcc, 0, v[4:5]
	v_cmp_eq_f64_e64 s[0:1], 0, v[6:7]
	s_and_b64 s[4:5], vcc, s[0:1]
	s_mov_b64 s[0:1], -1
	s_and_saveexec_b64 s[2:3], s[4:5]
; %bb.5:
	v_cmp_neq_f64_e32 vcc, 1.0, v[8:9]
	v_cmp_neq_f64_e64 s[0:1], 0, v[10:11]
	s_or_b64 s[0:1], vcc, s[0:1]
	s_orn2_b64 s[0:1], s[0:1], exec
; %bb.6:
	s_or_b64 exec, exec, s[2:3]
	s_and_saveexec_b64 s[2:3], s[0:1]
	s_cbranch_execz .LBB92_28
; %bb.7:
	s_load_dwordx2 s[0:1], s[6:7], 0x20
	s_waitcnt lgkmcnt(0)
	s_cmp_eq_u64 s[0:1], 0
	s_cbranch_scc1 .LBB92_9
; %bb.8:
	s_ashr_i32 s9, s8, 31
	s_lshl_b64 s[2:3], s[8:9], 2
	s_add_u32 s0, s0, s2
	s_addc_u32 s1, s1, s3
	s_load_dword s0, s[0:1], 0x0
	s_waitcnt lgkmcnt(0)
	s_sub_i32 s8, s0, s10
.LBB92_9:
	s_load_dword s11, s[6:7], 0x48
	v_lshrrev_b32_e32 v12, 5, v1
	s_waitcnt lgkmcnt(0)
	v_cmp_gt_i32_e32 vcc, s11, v12
	s_and_b64 exec, exec, vcc
	s_cbranch_execz .LBB92_28
; %bb.10:
	s_load_dwordx8 s[12:19], s[6:7], 0x28
	s_ashr_i32 s9, s8, 31
	s_lshl_b64 s[0:1], s[8:9], 2
	s_mul_hi_u32 s31, s11, s11
	s_mul_i32 s33, s11, s11
	s_waitcnt lgkmcnt(0)
	s_add_u32 s2, s12, s0
	s_addc_u32 s3, s13, s1
	s_load_dword s4, s[2:3], 0x0
	s_load_dwordx2 s[12:13], s[6:7], 0x68
	s_load_dwordx2 s[20:21], s[6:7], 0x50
	v_cmp_eq_f64_e32 vcc, 0, v[8:9]
	s_mul_i32 s35, s8, s11
	s_waitcnt lgkmcnt(0)
	s_sub_i32 s30, s4, s10
	s_add_u32 s2, s2, 4
	s_addc_u32 s3, s3, 0
	s_add_u32 s0, s14, s0
	s_addc_u32 s1, s15, s1
	s_cmp_eq_u64 s[14:15], 0
	s_cselect_b32 s1, s3, s1
	s_cselect_b32 s0, s2, s0
	s_load_dword s2, s[0:1], 0x0
	s_load_dword s3, s[6:7], 0x0
	s_mul_hi_u32 s8, s30, s33
	v_and_b32_e32 v14, 31, v1
	v_mov_b32_e32 v13, 0
	s_waitcnt lgkmcnt(0)
	s_sub_i32 s34, s2, s10
	s_cmp_lt_i32 s4, s2
	s_cselect_b64 s[24:25], -1, 0
	s_cmp_lg_u32 s3, 0
	v_cmp_eq_f64_e64 s[4:5], 0, v[10:11]
	s_cselect_b64 s[6:7], -1, 0
	s_and_b64 s[14:15], vcc, s[4:5]
	s_ashr_i32 s4, s30, 31
	s_mul_i32 s5, s30, s31
	s_add_i32 s5, s8, s5
	s_mul_i32 s4, s4, s33
	v_cndmask_b32_e64 v0, 0, 1, s[24:25]
	s_mov_b64 s[22:23], 0
	v_cmp_gt_u32_e64 s[0:1], s11, v14
	v_cmp_eq_u32_e64 s[2:3], 31, v14
	s_add_i32 s36, s5, s4
	s_mul_i32 s37, s30, s33
	v_mul_lo_u32 v24, s11, v12
	s_lshl_b32 s38, s11, 5
	v_mov_b32_e32 v15, v13
	v_mul_lo_u32 v25, s11, v14
	v_cmp_ne_u32_e64 s[4:5], 1, v0
	s_branch .LBB92_12
.LBB92_11:                              ;   in Loop: Header=BB92_12 Depth=1
	s_or_b64 exec, exec, s[8:9]
	v_add_u32_e32 v12, 32, v12
	v_cmp_le_i32_e32 vcc, s11, v12
	s_or_b64 s[22:23], vcc, s[22:23]
	v_add_u32_e32 v24, s38, v24
	s_andn2_b64 exec, exec, s[22:23]
	s_cbranch_execz .LBB92_28
.LBB92_12:                              ; =>This Loop Header: Depth=1
                                        ;     Child Loop BB92_16 Depth 2
                                        ;       Child Loop BB92_19 Depth 3
	v_pk_mov_b32 v[0:1], 0, 0
	s_and_b64 vcc, exec, s[4:5]
	v_pk_mov_b32 v[2:3], v[0:1], v[0:1] op_sel:[0,1]
	s_cbranch_vccnz .LBB92_23
; %bb.13:                               ;   in Loop: Header=BB92_12 Depth=1
	v_ashrrev_i32_e32 v0, 31, v24
	v_mov_b32_e32 v1, s36
	v_add_co_u32_e32 v16, vcc, s37, v24
	v_addc_co_u32_e32 v17, vcc, v1, v0, vcc
	v_pk_mov_b32 v[0:1], 0, 0
	s_mov_b32 s8, s30
	v_pk_mov_b32 v[2:3], v[0:1], v[0:1] op_sel:[0,1]
	s_branch .LBB92_16
.LBB92_14:                              ;   in Loop: Header=BB92_16 Depth=2
	s_or_b64 exec, exec, s[26:27]
.LBB92_15:                              ;   in Loop: Header=BB92_16 Depth=2
	s_or_b64 exec, exec, s[24:25]
	s_add_i32 s8, s8, 1
	v_mov_b32_e32 v18, s31
	v_add_co_u32_e32 v16, vcc, s33, v16
	s_cmp_ge_i32 s8, s34
	v_addc_co_u32_e32 v17, vcc, v17, v18, vcc
	s_cbranch_scc1 .LBB92_23
.LBB92_16:                              ;   Parent Loop BB92_12 Depth=1
                                        ; =>  This Loop Header: Depth=2
                                        ;       Child Loop BB92_19 Depth 3
	s_and_saveexec_b64 s[24:25], s[0:1]
	s_cbranch_execz .LBB92_15
; %bb.17:                               ;   in Loop: Header=BB92_16 Depth=2
	s_ashr_i32 s9, s8, 31
	s_lshl_b64 s[26:27], s[8:9], 2
	s_add_u32 s26, s16, s26
	s_addc_u32 s27, s17, s27
	s_load_dword s26, s[26:27], 0x0
	s_mul_i32 s27, s31, s8
	v_mov_b32_e32 v18, s8
	s_mul_i32 s9, s33, s9
	s_add_i32 s9, s9, s27
	s_waitcnt lgkmcnt(0)
	s_sub_i32 s28, s26, s10
	v_mad_u64_u32 v[18:19], s[26:27], s33, v18, v[12:13]
	v_add_u32_e32 v19, s9, v19
	s_mul_i32 s9, s28, s11
	s_mov_b64 s[26:27], 0
	v_mov_b32_e32 v26, v25
	v_pk_mov_b32 v[20:21], v[14:15], v[14:15] op_sel:[0,1]
	s_branch .LBB92_19
.LBB92_18:                              ;   in Loop: Header=BB92_19 Depth=3
	v_lshlrev_b64 v[22:23], 3, v[22:23]
	v_add_u32_e32 v28, s9, v20
	v_mov_b32_e32 v27, s19
	v_add_co_u32_e32 v22, vcc, s18, v22
	v_ashrrev_i32_e32 v29, 31, v28
	v_addc_co_u32_e32 v23, vcc, v27, v23, vcc
	v_lshlrev_b64 v[28:29], 4, v[28:29]
	v_mov_b32_e32 v27, s21
	v_add_co_u32_e32 v28, vcc, s20, v28
	v_addc_co_u32_e32 v29, vcc, v27, v29, vcc
	global_load_dwordx2 v[22:23], v[22:23], off
	v_add_co_u32_e32 v20, vcc, 32, v20
	global_load_dwordx4 v[28:31], v[28:29], off
	v_addc_co_u32_e32 v21, vcc, 0, v21, vcc
	v_cmp_le_i32_e32 vcc, s11, v20
	s_or_b64 s[26:27], vcc, s[26:27]
	v_add_u32_e32 v26, s38, v26
	s_waitcnt vmcnt(0)
	v_fmac_f64_e32 v[2:3], v[22:23], v[28:29]
	v_fmac_f64_e32 v[0:1], 0, v[28:29]
	v_fmac_f64_e32 v[2:3], 0x80000000, v[30:31]
	v_fmac_f64_e32 v[0:1], v[22:23], v[30:31]
	s_andn2_b64 exec, exec, s[26:27]
	s_cbranch_execz .LBB92_14
.LBB92_19:                              ;   Parent Loop BB92_12 Depth=1
                                        ;     Parent Loop BB92_16 Depth=2
                                        ; =>    This Inner Loop Header: Depth=3
	s_and_b64 vcc, exec, s[6:7]
	s_cbranch_vccz .LBB92_21
; %bb.20:                               ;   in Loop: Header=BB92_19 Depth=3
	v_ashrrev_i32_e32 v23, 31, v26
	v_add_co_u32_e32 v22, vcc, v18, v26
	v_addc_co_u32_e32 v23, vcc, v19, v23, vcc
	s_cbranch_execnz .LBB92_18
	s_branch .LBB92_22
.LBB92_21:                              ;   in Loop: Header=BB92_19 Depth=3
                                        ; implicit-def: $vgpr22_vgpr23
.LBB92_22:                              ;   in Loop: Header=BB92_19 Depth=3
	v_add_co_u32_e32 v22, vcc, v16, v20
	v_addc_co_u32_e32 v23, vcc, v17, v21, vcc
	s_branch .LBB92_18
.LBB92_23:                              ;   in Loop: Header=BB92_12 Depth=1
	s_nop 0
	v_mov_b32_dpp v16, v2 row_shr:1 row_mask:0xf bank_mask:0xf
	v_mov_b32_dpp v17, v3 row_shr:1 row_mask:0xf bank_mask:0xf
	v_mov_b32_dpp v18, v0 row_shr:1 row_mask:0xf bank_mask:0xf
	v_mov_b32_dpp v19, v1 row_shr:1 row_mask:0xf bank_mask:0xf
	v_add_f64 v[2:3], v[2:3], v[16:17]
	v_add_f64 v[0:1], v[0:1], v[18:19]
	s_nop 0
	v_mov_b32_dpp v16, v2 row_shr:2 row_mask:0xf bank_mask:0xf
	v_mov_b32_dpp v17, v3 row_shr:2 row_mask:0xf bank_mask:0xf
	v_mov_b32_dpp v18, v0 row_shr:2 row_mask:0xf bank_mask:0xf
	v_mov_b32_dpp v19, v1 row_shr:2 row_mask:0xf bank_mask:0xf
	v_add_f64 v[2:3], v[2:3], v[16:17]
	v_add_f64 v[0:1], v[0:1], v[18:19]
	;; [unrolled: 7-line block ×4, first 2 shown]
	s_nop 0
	v_mov_b32_dpp v16, v2 row_bcast:15 row_mask:0xa bank_mask:0xf
	v_mov_b32_dpp v17, v3 row_bcast:15 row_mask:0xa bank_mask:0xf
	;; [unrolled: 1-line block ×4, first 2 shown]
	s_and_saveexec_b64 s[8:9], s[2:3]
	s_cbranch_execz .LBB92_11
; %bb.24:                               ;   in Loop: Header=BB92_12 Depth=1
	v_add_f64 v[20:21], v[2:3], v[16:17]
	v_add_f64 v[2:3], v[0:1], v[18:19]
	v_mul_f64 v[0:1], v[2:3], -v[6:7]
	v_mul_f64 v[2:3], v[4:5], v[2:3]
	v_add_u32_e32 v16, s35, v12
	v_fmac_f64_e32 v[0:1], v[4:5], v[20:21]
	v_fmac_f64_e32 v[2:3], v[6:7], v[20:21]
	v_ashrrev_i32_e32 v17, 31, v16
	s_and_saveexec_b64 s[24:25], s[14:15]
	s_xor_b64 s[24:25], exec, s[24:25]
	s_cbranch_execz .LBB92_26
; %bb.25:                               ;   in Loop: Header=BB92_12 Depth=1
	v_lshlrev_b64 v[16:17], 4, v[16:17]
	v_mov_b32_e32 v18, s13
	v_add_co_u32_e32 v16, vcc, s12, v16
	v_addc_co_u32_e32 v17, vcc, v18, v17, vcc
	global_store_dwordx4 v[16:17], v[0:3], off
                                        ; implicit-def: $vgpr16
                                        ; implicit-def: $vgpr0_vgpr1
.LBB92_26:                              ;   in Loop: Header=BB92_12 Depth=1
	s_andn2_saveexec_b64 s[24:25], s[24:25]
	s_cbranch_execz .LBB92_11
; %bb.27:                               ;   in Loop: Header=BB92_12 Depth=1
	v_lshlrev_b64 v[16:17], 4, v[16:17]
	v_mov_b32_e32 v18, s13
	v_add_co_u32_e32 v20, vcc, s12, v16
	v_addc_co_u32_e32 v21, vcc, v18, v17, vcc
	global_load_dwordx4 v[16:19], v[20:21], off
	s_waitcnt vmcnt(0)
	v_fmac_f64_e32 v[0:1], v[8:9], v[16:17]
	v_fmac_f64_e32 v[2:3], v[10:11], v[16:17]
	v_fma_f64 v[0:1], -v[10:11], v[18:19], v[0:1]
	v_fmac_f64_e32 v[2:3], v[8:9], v[18:19]
	global_store_dwordx4 v[20:21], v[0:3], off
	s_branch .LBB92_11
.LBB92_28:
	s_endpgm
	.section	.rodata,"a",@progbits
	.p2align	6, 0x0
	.amdhsa_kernel _ZN9rocsparseL22bsrxmvn_general_kernelILj1024ELj32E21rocsparse_complex_numIdEiidS2_S2_EEv20rocsparse_direction_NS_24const_host_device_scalarIT1_EET3_PKS7_PKT2_SC_S9_PKT4_S7_PKT5_S6_PT6_21rocsparse_index_base_b
		.amdhsa_group_segment_fixed_size 16384
		.amdhsa_private_segment_fixed_size 0
		.amdhsa_kernarg_size 120
		.amdhsa_user_sgpr_count 8
		.amdhsa_user_sgpr_private_segment_buffer 1
		.amdhsa_user_sgpr_dispatch_ptr 1
		.amdhsa_user_sgpr_queue_ptr 0
		.amdhsa_user_sgpr_kernarg_segment_ptr 1
		.amdhsa_user_sgpr_dispatch_id 0
		.amdhsa_user_sgpr_flat_scratch_init 0
		.amdhsa_user_sgpr_kernarg_preload_length 0
		.amdhsa_user_sgpr_kernarg_preload_offset 0
		.amdhsa_user_sgpr_private_segment_size 0
		.amdhsa_uses_dynamic_stack 0
		.amdhsa_system_sgpr_private_segment_wavefront_offset 0
		.amdhsa_system_sgpr_workgroup_id_x 1
		.amdhsa_system_sgpr_workgroup_id_y 0
		.amdhsa_system_sgpr_workgroup_id_z 0
		.amdhsa_system_sgpr_workgroup_info 0
		.amdhsa_system_vgpr_workitem_id 2
		.amdhsa_next_free_vgpr 32
		.amdhsa_next_free_sgpr 39
		.amdhsa_accum_offset 32
		.amdhsa_reserve_vcc 1
		.amdhsa_reserve_flat_scratch 0
		.amdhsa_float_round_mode_32 0
		.amdhsa_float_round_mode_16_64 0
		.amdhsa_float_denorm_mode_32 3
		.amdhsa_float_denorm_mode_16_64 3
		.amdhsa_dx10_clamp 1
		.amdhsa_ieee_mode 1
		.amdhsa_fp16_overflow 0
		.amdhsa_tg_split 0
		.amdhsa_exception_fp_ieee_invalid_op 0
		.amdhsa_exception_fp_denorm_src 0
		.amdhsa_exception_fp_ieee_div_zero 0
		.amdhsa_exception_fp_ieee_overflow 0
		.amdhsa_exception_fp_ieee_underflow 0
		.amdhsa_exception_fp_ieee_inexact 0
		.amdhsa_exception_int_div_zero 0
	.end_amdhsa_kernel
	.section	.text._ZN9rocsparseL22bsrxmvn_general_kernelILj1024ELj32E21rocsparse_complex_numIdEiidS2_S2_EEv20rocsparse_direction_NS_24const_host_device_scalarIT1_EET3_PKS7_PKT2_SC_S9_PKT4_S7_PKT5_S6_PT6_21rocsparse_index_base_b,"axG",@progbits,_ZN9rocsparseL22bsrxmvn_general_kernelILj1024ELj32E21rocsparse_complex_numIdEiidS2_S2_EEv20rocsparse_direction_NS_24const_host_device_scalarIT1_EET3_PKS7_PKT2_SC_S9_PKT4_S7_PKT5_S6_PT6_21rocsparse_index_base_b,comdat
.Lfunc_end92:
	.size	_ZN9rocsparseL22bsrxmvn_general_kernelILj1024ELj32E21rocsparse_complex_numIdEiidS2_S2_EEv20rocsparse_direction_NS_24const_host_device_scalarIT1_EET3_PKS7_PKT2_SC_S9_PKT4_S7_PKT5_S6_PT6_21rocsparse_index_base_b, .Lfunc_end92-_ZN9rocsparseL22bsrxmvn_general_kernelILj1024ELj32E21rocsparse_complex_numIdEiidS2_S2_EEv20rocsparse_direction_NS_24const_host_device_scalarIT1_EET3_PKS7_PKT2_SC_S9_PKT4_S7_PKT5_S6_PT6_21rocsparse_index_base_b
                                        ; -- End function
	.section	.AMDGPU.csdata,"",@progbits
; Kernel info:
; codeLenInByte = 1448
; NumSgprs: 43
; NumVgprs: 32
; NumAgprs: 0
; TotalNumVgprs: 32
; ScratchSize: 0
; MemoryBound: 0
; FloatMode: 240
; IeeeMode: 1
; LDSByteSize: 16384 bytes/workgroup (compile time only)
; SGPRBlocks: 5
; VGPRBlocks: 3
; NumSGPRsForWavesPerEU: 43
; NumVGPRsForWavesPerEU: 32
; AccumOffset: 32
; Occupancy: 8
; WaveLimiterHint : 1
; COMPUTE_PGM_RSRC2:SCRATCH_EN: 0
; COMPUTE_PGM_RSRC2:USER_SGPR: 8
; COMPUTE_PGM_RSRC2:TRAP_HANDLER: 0
; COMPUTE_PGM_RSRC2:TGID_X_EN: 1
; COMPUTE_PGM_RSRC2:TGID_Y_EN: 0
; COMPUTE_PGM_RSRC2:TGID_Z_EN: 0
; COMPUTE_PGM_RSRC2:TIDIG_COMP_CNT: 2
; COMPUTE_PGM_RSRC3_GFX90A:ACCUM_OFFSET: 7
; COMPUTE_PGM_RSRC3_GFX90A:TG_SPLIT: 0
	.section	.text._ZN9rocsparseL22bsrxmvn_general_kernelILj64ELj8E21rocsparse_complex_numIdElidS2_S2_EEv20rocsparse_direction_NS_24const_host_device_scalarIT1_EET3_PKS7_PKT2_SC_S9_PKT4_S7_PKT5_S6_PT6_21rocsparse_index_base_b,"axG",@progbits,_ZN9rocsparseL22bsrxmvn_general_kernelILj64ELj8E21rocsparse_complex_numIdElidS2_S2_EEv20rocsparse_direction_NS_24const_host_device_scalarIT1_EET3_PKS7_PKT2_SC_S9_PKT4_S7_PKT5_S6_PT6_21rocsparse_index_base_b,comdat
	.globl	_ZN9rocsparseL22bsrxmvn_general_kernelILj64ELj8E21rocsparse_complex_numIdElidS2_S2_EEv20rocsparse_direction_NS_24const_host_device_scalarIT1_EET3_PKS7_PKT2_SC_S9_PKT4_S7_PKT5_S6_PT6_21rocsparse_index_base_b ; -- Begin function _ZN9rocsparseL22bsrxmvn_general_kernelILj64ELj8E21rocsparse_complex_numIdElidS2_S2_EEv20rocsparse_direction_NS_24const_host_device_scalarIT1_EET3_PKS7_PKT2_SC_S9_PKT4_S7_PKT5_S6_PT6_21rocsparse_index_base_b
	.p2align	8
	.type	_ZN9rocsparseL22bsrxmvn_general_kernelILj64ELj8E21rocsparse_complex_numIdElidS2_S2_EEv20rocsparse_direction_NS_24const_host_device_scalarIT1_EET3_PKS7_PKT2_SC_S9_PKT4_S7_PKT5_S6_PT6_21rocsparse_index_base_b,@function
_ZN9rocsparseL22bsrxmvn_general_kernelILj64ELj8E21rocsparse_complex_numIdElidS2_S2_EEv20rocsparse_direction_NS_24const_host_device_scalarIT1_EET3_PKS7_PKT2_SC_S9_PKT4_S7_PKT5_S6_PT6_21rocsparse_index_base_b: ; @_ZN9rocsparseL22bsrxmvn_general_kernelILj64ELj8E21rocsparse_complex_numIdElidS2_S2_EEv20rocsparse_direction_NS_24const_host_device_scalarIT1_EET3_PKS7_PKT2_SC_S9_PKT4_S7_PKT5_S6_PT6_21rocsparse_index_base_b
; %bb.0:
	s_load_dwordx2 s[10:11], s[6:7], 0x70
	s_load_dwordx4 s[12:15], s[6:7], 0x8
	s_load_dwordx2 s[20:21], s[4:5], 0x4
	s_load_dwordx4 s[16:19], s[6:7], 0x58
	s_mov_b64 s[2:3], src_shared_base
	v_bfe_u32 v2, v0, 10, 10
	s_waitcnt lgkmcnt(0)
	s_bitcmp1_b32 s11, 0
	s_cselect_b64 s[0:1], -1, 0
	s_and_b64 vcc, s[0:1], exec
	s_cselect_b32 s2, s3, s13
	s_lshr_b32 s4, s20, 16
	v_and_b32_e32 v1, 0x3ff, v0
	s_mul_i32 s4, s4, s21
	v_mul_u32_u24_e32 v2, s21, v2
	v_mad_u32_u24 v2, s4, v1, v2
	v_bfe_u32 v0, v0, 20, 10
	v_add_lshl_u32 v0, v2, v0, 3
	v_mov_b32_e32 v6, s12
	v_add_u32_e32 v7, 0x200, v0
	v_pk_mov_b32 v[2:3], s[12:13], s[12:13] op_sel:[0,1]
	v_pk_mov_b32 v[4:5], s[16:17], s[16:17] op_sel:[0,1]
	ds_write2st64_b64 v0, v[4:5], v[2:3] offset1:1
	v_cndmask_b32_e64 v2, v6, v7, s[0:1]
	v_mov_b32_e32 v3, s2
	flat_load_dwordx2 v[4:5], v[2:3]
	s_xor_b64 s[4:5], s[0:1], -1
	v_pk_mov_b32 v[6:7], s[14:15], s[14:15] op_sel:[0,1]
	s_cbranch_vccnz .LBB93_2
; %bb.1:
	v_pk_mov_b32 v[2:3], s[12:13], s[12:13] op_sel:[0,1]
	flat_load_dwordx2 v[6:7], v[2:3] offset:8
.LBB93_2:
	s_and_b64 s[12:13], s[0:1], exec
	s_cselect_b32 s2, s3, s17
	v_mov_b32_e32 v2, s16
	v_cndmask_b32_e64 v2, v2, v0, s[0:1]
	v_mov_b32_e32 v3, s2
	flat_load_dwordx2 v[8:9], v[2:3]
	s_andn2_b64 vcc, exec, s[4:5]
	v_pk_mov_b32 v[10:11], s[18:19], s[18:19] op_sel:[0,1]
	s_cbranch_vccnz .LBB93_4
; %bb.3:
	v_pk_mov_b32 v[2:3], s[16:17], s[16:17] op_sel:[0,1]
	flat_load_dwordx2 v[10:11], v[2:3] offset:8
.LBB93_4:
	s_waitcnt vmcnt(0) lgkmcnt(0)
	v_cmp_eq_f64_e32 vcc, 0, v[4:5]
	v_cmp_eq_f64_e64 s[0:1], 0, v[6:7]
	s_and_b64 s[4:5], vcc, s[0:1]
	s_mov_b64 s[0:1], -1
	s_and_saveexec_b64 s[2:3], s[4:5]
; %bb.5:
	v_cmp_neq_f64_e32 vcc, 1.0, v[8:9]
	v_cmp_neq_f64_e64 s[0:1], 0, v[10:11]
	s_or_b64 s[0:1], vcc, s[0:1]
	s_orn2_b64 s[0:1], s[0:1], exec
; %bb.6:
	s_or_b64 exec, exec, s[2:3]
	s_and_saveexec_b64 s[2:3], s[0:1]
	s_cbranch_execz .LBB93_28
; %bb.7:
	s_load_dwordx2 s[0:1], s[6:7], 0x20
	s_waitcnt lgkmcnt(0)
	s_cmp_eq_u64 s[0:1], 0
	s_cbranch_scc1 .LBB93_9
; %bb.8:
	s_ashr_i32 s9, s8, 31
	s_lshl_b64 s[2:3], s[8:9], 2
	s_add_u32 s0, s0, s2
	s_addc_u32 s1, s1, s3
	s_load_dword s0, s[0:1], 0x0
	s_waitcnt lgkmcnt(0)
	s_sub_i32 s8, s0, s10
.LBB93_9:
	s_load_dword s11, s[6:7], 0x48
	v_lshrrev_b32_e32 v12, 3, v1
	s_waitcnt lgkmcnt(0)
	v_cmp_gt_i32_e32 vcc, s11, v12
	s_and_b64 exec, exec, vcc
	s_cbranch_execz .LBB93_28
; %bb.10:
	s_load_dwordx8 s[12:19], s[6:7], 0x28
	s_ashr_i32 s9, s8, 31
	s_lshl_b64 s[0:1], s[8:9], 3
	v_and_b32_e32 v14, 7, v1
	s_mul_hi_u32 s33, s11, s11
	s_waitcnt lgkmcnt(0)
	s_add_u32 s2, s12, s0
	s_addc_u32 s3, s13, s1
	s_load_dwordx2 s[28:29], s[2:3], 0x0
	s_load_dwordx2 s[12:13], s[6:7], 0x68
	;; [unrolled: 1-line block ×3, first 2 shown]
	s_mul_i32 s36, s11, s11
	v_cmp_eq_f64_e32 vcc, 0, v[8:9]
	s_waitcnt lgkmcnt(0)
	s_sub_u32 s24, s28, s10
	s_subb_u32 s25, s29, 0
	s_add_u32 s2, s2, 8
	s_addc_u32 s3, s3, 0
	s_add_u32 s0, s14, s0
	s_addc_u32 s1, s15, s1
	s_cmp_eq_u64 s[14:15], 0
	s_cselect_b32 s1, s3, s1
	s_cselect_b32 s0, s2, s0
	s_load_dwordx2 s[2:3], s[0:1], 0x0
	s_load_dword s4, s[6:7], 0x0
	s_mov_b64 s[22:23], 0
	v_cmp_gt_u32_e64 s[0:1], s11, v14
	s_mul_i32 s37, s8, s11
	s_waitcnt lgkmcnt(0)
	s_sub_u32 s6, s2, s10
	s_subb_u32 s7, s3, 0
	v_pk_mov_b32 v[0:1], s[2:3], s[2:3] op_sel:[0,1]
	s_cmp_lg_u32 s4, 0
	v_cmp_eq_f64_e64 s[4:5], 0, v[10:11]
	s_cselect_b64 s[14:15], -1, 0
	s_and_b64 s[26:27], vcc, s[4:5]
	s_mul_i32 s4, s24, s33
	s_mul_hi_u32 s5, s24, s36
	v_cmp_lt_i64_e32 vcc, s[28:29], v[0:1]
	s_add_i32 s4, s5, s4
	s_mul_i32 s5, s25, s36
	v_cndmask_b32_e64 v0, 0, 1, vcc
	v_cmp_eq_u32_e64 s[2:3], 7, v14
	s_add_i32 s38, s4, s5
	s_mul_i32 s39, s24, s36
	v_mul_lo_u32 v24, s11, v12
	s_lshl_b32 s40, s11, 3
	v_mov_b32_e32 v15, 0
	v_mul_lo_u32 v25, s11, v14
	v_cmp_ne_u32_e64 s[4:5], 1, v0
	s_branch .LBB93_12
.LBB93_11:                              ;   in Loop: Header=BB93_12 Depth=1
	s_or_b64 exec, exec, s[8:9]
	v_add_u32_e32 v12, 8, v12
	v_cmp_le_i32_e32 vcc, s11, v12
	s_or_b64 s[22:23], vcc, s[22:23]
	v_add_u32_e32 v24, s40, v24
	s_andn2_b64 exec, exec, s[22:23]
	s_cbranch_execz .LBB93_28
.LBB93_12:                              ; =>This Loop Header: Depth=1
                                        ;     Child Loop BB93_16 Depth 2
                                        ;       Child Loop BB93_19 Depth 3
	v_pk_mov_b32 v[0:1], 0, 0
	s_and_b64 vcc, exec, s[4:5]
	v_pk_mov_b32 v[2:3], v[0:1], v[0:1] op_sel:[0,1]
	s_cbranch_vccnz .LBB93_23
; %bb.13:                               ;   in Loop: Header=BB93_12 Depth=1
	v_ashrrev_i32_e32 v0, 31, v24
	v_mov_b32_e32 v1, s38
	v_add_co_u32_e32 v16, vcc, s39, v24
	v_addc_co_u32_e32 v17, vcc, v1, v0, vcc
	v_pk_mov_b32 v[0:1], 0, 0
	v_ashrrev_i32_e32 v13, 31, v12
	s_mov_b64 s[8:9], s[24:25]
	v_pk_mov_b32 v[2:3], v[0:1], v[0:1] op_sel:[0,1]
	s_branch .LBB93_16
.LBB93_14:                              ;   in Loop: Header=BB93_16 Depth=2
	s_or_b64 exec, exec, s[30:31]
.LBB93_15:                              ;   in Loop: Header=BB93_16 Depth=2
	s_or_b64 exec, exec, s[28:29]
	s_add_u32 s8, s8, 1
	v_mov_b32_e32 v18, s33
	v_add_co_u32_e32 v16, vcc, s36, v16
	s_addc_u32 s9, s9, 0
	v_addc_co_u32_e32 v17, vcc, v17, v18, vcc
	v_pk_mov_b32 v[18:19], s[6:7], s[6:7] op_sel:[0,1]
	v_cmp_ge_i64_e32 vcc, s[8:9], v[18:19]
	s_cbranch_vccnz .LBB93_23
.LBB93_16:                              ;   Parent Loop BB93_12 Depth=1
                                        ; =>  This Loop Header: Depth=2
                                        ;       Child Loop BB93_19 Depth 3
	s_and_saveexec_b64 s[28:29], s[0:1]
	s_cbranch_execz .LBB93_15
; %bb.17:                               ;   in Loop: Header=BB93_16 Depth=2
	s_lshl_b64 s[30:31], s[8:9], 2
	s_add_u32 s30, s16, s30
	s_addc_u32 s31, s17, s31
	s_load_dword s30, s[30:31], 0x0
	s_mul_i32 s31, s33, s8
	s_mul_i32 s34, s36, s9
	v_mov_b32_e32 v18, s8
	s_add_i32 s34, s34, s31
	s_waitcnt lgkmcnt(0)
	s_sub_i32 s35, s30, s10
	v_mad_u64_u32 v[18:19], s[30:31], s36, v18, v[12:13]
	v_add_u32_e32 v19, s34, v19
	s_mul_i32 s41, s35, s11
	s_mov_b64 s[30:31], 0
	v_mov_b32_e32 v26, v25
	v_pk_mov_b32 v[20:21], v[14:15], v[14:15] op_sel:[0,1]
	s_branch .LBB93_19
.LBB93_18:                              ;   in Loop: Header=BB93_19 Depth=3
	v_lshlrev_b64 v[22:23], 3, v[22:23]
	v_add_u32_e32 v28, s41, v20
	v_mov_b32_e32 v27, s19
	v_add_co_u32_e32 v22, vcc, s18, v22
	v_ashrrev_i32_e32 v29, 31, v28
	v_addc_co_u32_e32 v23, vcc, v27, v23, vcc
	v_lshlrev_b64 v[28:29], 4, v[28:29]
	v_mov_b32_e32 v27, s21
	v_add_co_u32_e32 v28, vcc, s20, v28
	v_addc_co_u32_e32 v29, vcc, v27, v29, vcc
	global_load_dwordx2 v[22:23], v[22:23], off
	v_add_co_u32_e32 v20, vcc, 8, v20
	global_load_dwordx4 v[28:31], v[28:29], off
	v_addc_co_u32_e32 v21, vcc, 0, v21, vcc
	v_cmp_le_i32_e32 vcc, s11, v20
	s_or_b64 s[30:31], vcc, s[30:31]
	v_add_u32_e32 v26, s40, v26
	s_waitcnt vmcnt(0)
	v_fmac_f64_e32 v[2:3], v[22:23], v[28:29]
	v_fmac_f64_e32 v[0:1], 0, v[28:29]
	;; [unrolled: 1-line block ×4, first 2 shown]
	s_andn2_b64 exec, exec, s[30:31]
	s_cbranch_execz .LBB93_14
.LBB93_19:                              ;   Parent Loop BB93_12 Depth=1
                                        ;     Parent Loop BB93_16 Depth=2
                                        ; =>    This Inner Loop Header: Depth=3
	s_and_b64 vcc, exec, s[14:15]
	s_cbranch_vccz .LBB93_21
; %bb.20:                               ;   in Loop: Header=BB93_19 Depth=3
	v_ashrrev_i32_e32 v23, 31, v26
	v_add_co_u32_e32 v22, vcc, v18, v26
	v_addc_co_u32_e32 v23, vcc, v19, v23, vcc
	s_cbranch_execnz .LBB93_18
	s_branch .LBB93_22
.LBB93_21:                              ;   in Loop: Header=BB93_19 Depth=3
                                        ; implicit-def: $vgpr22_vgpr23
.LBB93_22:                              ;   in Loop: Header=BB93_19 Depth=3
	v_add_co_u32_e32 v22, vcc, v16, v20
	v_addc_co_u32_e32 v23, vcc, v17, v21, vcc
	s_branch .LBB93_18
.LBB93_23:                              ;   in Loop: Header=BB93_12 Depth=1
	s_nop 0
	v_mov_b32_dpp v16, v2 row_shr:1 row_mask:0xf bank_mask:0xf
	v_mov_b32_dpp v17, v3 row_shr:1 row_mask:0xf bank_mask:0xf
	v_mov_b32_dpp v18, v0 row_shr:1 row_mask:0xf bank_mask:0xf
	v_mov_b32_dpp v19, v1 row_shr:1 row_mask:0xf bank_mask:0xf
	v_add_f64 v[2:3], v[2:3], v[16:17]
	v_add_f64 v[0:1], v[0:1], v[18:19]
	s_nop 0
	v_mov_b32_dpp v16, v2 row_shr:2 row_mask:0xf bank_mask:0xf
	v_mov_b32_dpp v17, v3 row_shr:2 row_mask:0xf bank_mask:0xf
	;; [unrolled: 1-line block ×4, first 2 shown]
	v_add_f64 v[2:3], v[2:3], v[16:17]
	v_add_f64 v[0:1], v[0:1], v[18:19]
	s_nop 0
	v_mov_b32_dpp v16, v2 row_shr:4 row_mask:0xf bank_mask:0xe
	v_mov_b32_dpp v17, v3 row_shr:4 row_mask:0xf bank_mask:0xe
	;; [unrolled: 1-line block ×4, first 2 shown]
	s_and_saveexec_b64 s[8:9], s[2:3]
	s_cbranch_execz .LBB93_11
; %bb.24:                               ;   in Loop: Header=BB93_12 Depth=1
	v_add_f64 v[20:21], v[2:3], v[16:17]
	v_add_f64 v[2:3], v[0:1], v[18:19]
	v_mul_f64 v[0:1], v[2:3], -v[6:7]
	v_mul_f64 v[2:3], v[4:5], v[2:3]
	v_add_u32_e32 v16, s37, v12
	v_fmac_f64_e32 v[0:1], v[4:5], v[20:21]
	v_fmac_f64_e32 v[2:3], v[6:7], v[20:21]
	v_ashrrev_i32_e32 v17, 31, v16
	s_and_saveexec_b64 s[28:29], s[26:27]
	s_xor_b64 s[28:29], exec, s[28:29]
	s_cbranch_execz .LBB93_26
; %bb.25:                               ;   in Loop: Header=BB93_12 Depth=1
	v_lshlrev_b64 v[16:17], 4, v[16:17]
	v_mov_b32_e32 v13, s13
	v_add_co_u32_e32 v16, vcc, s12, v16
	v_addc_co_u32_e32 v17, vcc, v13, v17, vcc
	global_store_dwordx4 v[16:17], v[0:3], off
                                        ; implicit-def: $vgpr16
                                        ; implicit-def: $vgpr0_vgpr1
.LBB93_26:                              ;   in Loop: Header=BB93_12 Depth=1
	s_andn2_saveexec_b64 s[28:29], s[28:29]
	s_cbranch_execz .LBB93_11
; %bb.27:                               ;   in Loop: Header=BB93_12 Depth=1
	v_lshlrev_b64 v[16:17], 4, v[16:17]
	v_mov_b32_e32 v13, s13
	v_add_co_u32_e32 v20, vcc, s12, v16
	v_addc_co_u32_e32 v21, vcc, v13, v17, vcc
	global_load_dwordx4 v[16:19], v[20:21], off
	s_waitcnt vmcnt(0)
	v_fmac_f64_e32 v[0:1], v[8:9], v[16:17]
	v_fmac_f64_e32 v[2:3], v[10:11], v[16:17]
	v_fma_f64 v[0:1], -v[10:11], v[18:19], v[0:1]
	v_fmac_f64_e32 v[2:3], v[8:9], v[18:19]
	global_store_dwordx4 v[20:21], v[0:3], off
	s_branch .LBB93_11
.LBB93_28:
	s_endpgm
	.section	.rodata,"a",@progbits
	.p2align	6, 0x0
	.amdhsa_kernel _ZN9rocsparseL22bsrxmvn_general_kernelILj64ELj8E21rocsparse_complex_numIdElidS2_S2_EEv20rocsparse_direction_NS_24const_host_device_scalarIT1_EET3_PKS7_PKT2_SC_S9_PKT4_S7_PKT5_S6_PT6_21rocsparse_index_base_b
		.amdhsa_group_segment_fixed_size 1024
		.amdhsa_private_segment_fixed_size 0
		.amdhsa_kernarg_size 120
		.amdhsa_user_sgpr_count 8
		.amdhsa_user_sgpr_private_segment_buffer 1
		.amdhsa_user_sgpr_dispatch_ptr 1
		.amdhsa_user_sgpr_queue_ptr 0
		.amdhsa_user_sgpr_kernarg_segment_ptr 1
		.amdhsa_user_sgpr_dispatch_id 0
		.amdhsa_user_sgpr_flat_scratch_init 0
		.amdhsa_user_sgpr_kernarg_preload_length 0
		.amdhsa_user_sgpr_kernarg_preload_offset 0
		.amdhsa_user_sgpr_private_segment_size 0
		.amdhsa_uses_dynamic_stack 0
		.amdhsa_system_sgpr_private_segment_wavefront_offset 0
		.amdhsa_system_sgpr_workgroup_id_x 1
		.amdhsa_system_sgpr_workgroup_id_y 0
		.amdhsa_system_sgpr_workgroup_id_z 0
		.amdhsa_system_sgpr_workgroup_info 0
		.amdhsa_system_vgpr_workitem_id 2
		.amdhsa_next_free_vgpr 32
		.amdhsa_next_free_sgpr 42
		.amdhsa_accum_offset 32
		.amdhsa_reserve_vcc 1
		.amdhsa_reserve_flat_scratch 0
		.amdhsa_float_round_mode_32 0
		.amdhsa_float_round_mode_16_64 0
		.amdhsa_float_denorm_mode_32 3
		.amdhsa_float_denorm_mode_16_64 3
		.amdhsa_dx10_clamp 1
		.amdhsa_ieee_mode 1
		.amdhsa_fp16_overflow 0
		.amdhsa_tg_split 0
		.amdhsa_exception_fp_ieee_invalid_op 0
		.amdhsa_exception_fp_denorm_src 0
		.amdhsa_exception_fp_ieee_div_zero 0
		.amdhsa_exception_fp_ieee_overflow 0
		.amdhsa_exception_fp_ieee_underflow 0
		.amdhsa_exception_fp_ieee_inexact 0
		.amdhsa_exception_int_div_zero 0
	.end_amdhsa_kernel
	.section	.text._ZN9rocsparseL22bsrxmvn_general_kernelILj64ELj8E21rocsparse_complex_numIdElidS2_S2_EEv20rocsparse_direction_NS_24const_host_device_scalarIT1_EET3_PKS7_PKT2_SC_S9_PKT4_S7_PKT5_S6_PT6_21rocsparse_index_base_b,"axG",@progbits,_ZN9rocsparseL22bsrxmvn_general_kernelILj64ELj8E21rocsparse_complex_numIdElidS2_S2_EEv20rocsparse_direction_NS_24const_host_device_scalarIT1_EET3_PKS7_PKT2_SC_S9_PKT4_S7_PKT5_S6_PT6_21rocsparse_index_base_b,comdat
.Lfunc_end93:
	.size	_ZN9rocsparseL22bsrxmvn_general_kernelILj64ELj8E21rocsparse_complex_numIdElidS2_S2_EEv20rocsparse_direction_NS_24const_host_device_scalarIT1_EET3_PKS7_PKT2_SC_S9_PKT4_S7_PKT5_S6_PT6_21rocsparse_index_base_b, .Lfunc_end93-_ZN9rocsparseL22bsrxmvn_general_kernelILj64ELj8E21rocsparse_complex_numIdElidS2_S2_EEv20rocsparse_direction_NS_24const_host_device_scalarIT1_EET3_PKS7_PKT2_SC_S9_PKT4_S7_PKT5_S6_PT6_21rocsparse_index_base_b
                                        ; -- End function
	.section	.AMDGPU.csdata,"",@progbits
; Kernel info:
; codeLenInByte = 1356
; NumSgprs: 46
; NumVgprs: 32
; NumAgprs: 0
; TotalNumVgprs: 32
; ScratchSize: 0
; MemoryBound: 0
; FloatMode: 240
; IeeeMode: 1
; LDSByteSize: 1024 bytes/workgroup (compile time only)
; SGPRBlocks: 5
; VGPRBlocks: 3
; NumSGPRsForWavesPerEU: 46
; NumVGPRsForWavesPerEU: 32
; AccumOffset: 32
; Occupancy: 8
; WaveLimiterHint : 1
; COMPUTE_PGM_RSRC2:SCRATCH_EN: 0
; COMPUTE_PGM_RSRC2:USER_SGPR: 8
; COMPUTE_PGM_RSRC2:TRAP_HANDLER: 0
; COMPUTE_PGM_RSRC2:TGID_X_EN: 1
; COMPUTE_PGM_RSRC2:TGID_Y_EN: 0
; COMPUTE_PGM_RSRC2:TGID_Z_EN: 0
; COMPUTE_PGM_RSRC2:TIDIG_COMP_CNT: 2
; COMPUTE_PGM_RSRC3_GFX90A:ACCUM_OFFSET: 7
; COMPUTE_PGM_RSRC3_GFX90A:TG_SPLIT: 0
	.section	.text._ZN9rocsparseL22bsrxmvn_general_kernelILj256ELj16E21rocsparse_complex_numIdElidS2_S2_EEv20rocsparse_direction_NS_24const_host_device_scalarIT1_EET3_PKS7_PKT2_SC_S9_PKT4_S7_PKT5_S6_PT6_21rocsparse_index_base_b,"axG",@progbits,_ZN9rocsparseL22bsrxmvn_general_kernelILj256ELj16E21rocsparse_complex_numIdElidS2_S2_EEv20rocsparse_direction_NS_24const_host_device_scalarIT1_EET3_PKS7_PKT2_SC_S9_PKT4_S7_PKT5_S6_PT6_21rocsparse_index_base_b,comdat
	.globl	_ZN9rocsparseL22bsrxmvn_general_kernelILj256ELj16E21rocsparse_complex_numIdElidS2_S2_EEv20rocsparse_direction_NS_24const_host_device_scalarIT1_EET3_PKS7_PKT2_SC_S9_PKT4_S7_PKT5_S6_PT6_21rocsparse_index_base_b ; -- Begin function _ZN9rocsparseL22bsrxmvn_general_kernelILj256ELj16E21rocsparse_complex_numIdElidS2_S2_EEv20rocsparse_direction_NS_24const_host_device_scalarIT1_EET3_PKS7_PKT2_SC_S9_PKT4_S7_PKT5_S6_PT6_21rocsparse_index_base_b
	.p2align	8
	.type	_ZN9rocsparseL22bsrxmvn_general_kernelILj256ELj16E21rocsparse_complex_numIdElidS2_S2_EEv20rocsparse_direction_NS_24const_host_device_scalarIT1_EET3_PKS7_PKT2_SC_S9_PKT4_S7_PKT5_S6_PT6_21rocsparse_index_base_b,@function
_ZN9rocsparseL22bsrxmvn_general_kernelILj256ELj16E21rocsparse_complex_numIdElidS2_S2_EEv20rocsparse_direction_NS_24const_host_device_scalarIT1_EET3_PKS7_PKT2_SC_S9_PKT4_S7_PKT5_S6_PT6_21rocsparse_index_base_b: ; @_ZN9rocsparseL22bsrxmvn_general_kernelILj256ELj16E21rocsparse_complex_numIdElidS2_S2_EEv20rocsparse_direction_NS_24const_host_device_scalarIT1_EET3_PKS7_PKT2_SC_S9_PKT4_S7_PKT5_S6_PT6_21rocsparse_index_base_b
; %bb.0:
	s_load_dwordx2 s[10:11], s[6:7], 0x70
	s_load_dwordx4 s[12:15], s[6:7], 0x8
	s_load_dwordx2 s[20:21], s[4:5], 0x4
	s_load_dwordx4 s[16:19], s[6:7], 0x58
	s_mov_b64 s[2:3], src_shared_base
	v_and_b32_e32 v1, 0x3ff, v0
	s_waitcnt lgkmcnt(0)
	s_bitcmp1_b32 s11, 0
	s_cselect_b64 s[0:1], -1, 0
	s_and_b64 vcc, s[0:1], exec
	s_cselect_b32 s2, s3, s13
	s_lshr_b32 s4, s20, 16
	s_mul_i32 s4, s4, s21
	v_mul_lo_u32 v2, s4, v1
	v_bfe_u32 v3, v0, 10, 10
	v_mad_u32_u24 v2, v3, s21, v2
	v_bfe_u32 v0, v0, 20, 10
	v_add_lshl_u32 v0, v2, v0, 3
	v_mov_b32_e32 v6, s12
	v_add_u32_e32 v7, 0x800, v0
	v_pk_mov_b32 v[2:3], s[12:13], s[12:13] op_sel:[0,1]
	v_pk_mov_b32 v[4:5], s[16:17], s[16:17] op_sel:[0,1]
	ds_write2st64_b64 v0, v[4:5], v[2:3] offset1:4
	v_cndmask_b32_e64 v2, v6, v7, s[0:1]
	v_mov_b32_e32 v3, s2
	flat_load_dwordx2 v[4:5], v[2:3]
	s_xor_b64 s[4:5], s[0:1], -1
	v_pk_mov_b32 v[6:7], s[14:15], s[14:15] op_sel:[0,1]
	s_cbranch_vccnz .LBB94_2
; %bb.1:
	v_pk_mov_b32 v[2:3], s[12:13], s[12:13] op_sel:[0,1]
	flat_load_dwordx2 v[6:7], v[2:3] offset:8
.LBB94_2:
	s_and_b64 s[12:13], s[0:1], exec
	s_cselect_b32 s2, s3, s17
	v_mov_b32_e32 v2, s16
	v_cndmask_b32_e64 v2, v2, v0, s[0:1]
	v_mov_b32_e32 v3, s2
	flat_load_dwordx2 v[8:9], v[2:3]
	s_andn2_b64 vcc, exec, s[4:5]
	v_pk_mov_b32 v[10:11], s[18:19], s[18:19] op_sel:[0,1]
	s_cbranch_vccnz .LBB94_4
; %bb.3:
	v_pk_mov_b32 v[2:3], s[16:17], s[16:17] op_sel:[0,1]
	flat_load_dwordx2 v[10:11], v[2:3] offset:8
.LBB94_4:
	s_waitcnt vmcnt(0) lgkmcnt(0)
	v_cmp_eq_f64_e32 vcc, 0, v[4:5]
	v_cmp_eq_f64_e64 s[0:1], 0, v[6:7]
	s_and_b64 s[4:5], vcc, s[0:1]
	s_mov_b64 s[0:1], -1
	s_and_saveexec_b64 s[2:3], s[4:5]
; %bb.5:
	v_cmp_neq_f64_e32 vcc, 1.0, v[8:9]
	v_cmp_neq_f64_e64 s[0:1], 0, v[10:11]
	s_or_b64 s[0:1], vcc, s[0:1]
	s_orn2_b64 s[0:1], s[0:1], exec
; %bb.6:
	s_or_b64 exec, exec, s[2:3]
	s_and_saveexec_b64 s[2:3], s[0:1]
	s_cbranch_execz .LBB94_28
; %bb.7:
	s_load_dwordx2 s[0:1], s[6:7], 0x20
	s_waitcnt lgkmcnt(0)
	s_cmp_eq_u64 s[0:1], 0
	s_cbranch_scc1 .LBB94_9
; %bb.8:
	s_ashr_i32 s9, s8, 31
	s_lshl_b64 s[2:3], s[8:9], 2
	s_add_u32 s0, s0, s2
	s_addc_u32 s1, s1, s3
	s_load_dword s0, s[0:1], 0x0
	s_waitcnt lgkmcnt(0)
	s_sub_i32 s8, s0, s10
.LBB94_9:
	s_load_dword s11, s[6:7], 0x48
	v_lshrrev_b32_e32 v12, 4, v1
	s_waitcnt lgkmcnt(0)
	v_cmp_gt_i32_e32 vcc, s11, v12
	s_and_b64 exec, exec, vcc
	s_cbranch_execz .LBB94_28
; %bb.10:
	s_load_dwordx8 s[12:19], s[6:7], 0x28
	s_ashr_i32 s9, s8, 31
	s_lshl_b64 s[0:1], s[8:9], 3
	v_and_b32_e32 v14, 15, v1
	s_mul_hi_u32 s33, s11, s11
	s_waitcnt lgkmcnt(0)
	s_add_u32 s2, s12, s0
	s_addc_u32 s3, s13, s1
	s_load_dwordx2 s[28:29], s[2:3], 0x0
	s_load_dwordx2 s[12:13], s[6:7], 0x68
	;; [unrolled: 1-line block ×3, first 2 shown]
	s_mul_i32 s36, s11, s11
	v_cmp_eq_f64_e32 vcc, 0, v[8:9]
	s_waitcnt lgkmcnt(0)
	s_sub_u32 s24, s28, s10
	s_subb_u32 s25, s29, 0
	s_add_u32 s2, s2, 8
	s_addc_u32 s3, s3, 0
	s_add_u32 s0, s14, s0
	s_addc_u32 s1, s15, s1
	s_cmp_eq_u64 s[14:15], 0
	s_cselect_b32 s1, s3, s1
	s_cselect_b32 s0, s2, s0
	s_load_dwordx2 s[2:3], s[0:1], 0x0
	s_load_dword s4, s[6:7], 0x0
	s_mov_b64 s[22:23], 0
	v_cmp_gt_u32_e64 s[0:1], s11, v14
	s_mul_i32 s37, s8, s11
	s_waitcnt lgkmcnt(0)
	s_sub_u32 s6, s2, s10
	s_subb_u32 s7, s3, 0
	v_pk_mov_b32 v[0:1], s[2:3], s[2:3] op_sel:[0,1]
	s_cmp_lg_u32 s4, 0
	v_cmp_eq_f64_e64 s[4:5], 0, v[10:11]
	s_cselect_b64 s[14:15], -1, 0
	s_and_b64 s[26:27], vcc, s[4:5]
	s_mul_i32 s4, s24, s33
	s_mul_hi_u32 s5, s24, s36
	v_cmp_lt_i64_e32 vcc, s[28:29], v[0:1]
	s_add_i32 s4, s5, s4
	s_mul_i32 s5, s25, s36
	v_cndmask_b32_e64 v0, 0, 1, vcc
	v_cmp_eq_u32_e64 s[2:3], 15, v14
	s_add_i32 s38, s4, s5
	s_mul_i32 s39, s24, s36
	v_mul_lo_u32 v24, s11, v12
	s_lshl_b32 s40, s11, 4
	v_mov_b32_e32 v15, 0
	v_mul_lo_u32 v25, s11, v14
	v_cmp_ne_u32_e64 s[4:5], 1, v0
	s_branch .LBB94_12
.LBB94_11:                              ;   in Loop: Header=BB94_12 Depth=1
	s_or_b64 exec, exec, s[8:9]
	v_add_u32_e32 v12, 16, v12
	v_cmp_le_i32_e32 vcc, s11, v12
	s_or_b64 s[22:23], vcc, s[22:23]
	v_add_u32_e32 v24, s40, v24
	s_andn2_b64 exec, exec, s[22:23]
	s_cbranch_execz .LBB94_28
.LBB94_12:                              ; =>This Loop Header: Depth=1
                                        ;     Child Loop BB94_16 Depth 2
                                        ;       Child Loop BB94_19 Depth 3
	v_pk_mov_b32 v[0:1], 0, 0
	s_and_b64 vcc, exec, s[4:5]
	v_pk_mov_b32 v[2:3], v[0:1], v[0:1] op_sel:[0,1]
	s_cbranch_vccnz .LBB94_23
; %bb.13:                               ;   in Loop: Header=BB94_12 Depth=1
	v_ashrrev_i32_e32 v0, 31, v24
	v_mov_b32_e32 v1, s38
	v_add_co_u32_e32 v16, vcc, s39, v24
	v_addc_co_u32_e32 v17, vcc, v1, v0, vcc
	v_pk_mov_b32 v[0:1], 0, 0
	v_ashrrev_i32_e32 v13, 31, v12
	s_mov_b64 s[8:9], s[24:25]
	v_pk_mov_b32 v[2:3], v[0:1], v[0:1] op_sel:[0,1]
	s_branch .LBB94_16
.LBB94_14:                              ;   in Loop: Header=BB94_16 Depth=2
	s_or_b64 exec, exec, s[30:31]
.LBB94_15:                              ;   in Loop: Header=BB94_16 Depth=2
	s_or_b64 exec, exec, s[28:29]
	s_add_u32 s8, s8, 1
	v_mov_b32_e32 v18, s33
	v_add_co_u32_e32 v16, vcc, s36, v16
	s_addc_u32 s9, s9, 0
	v_addc_co_u32_e32 v17, vcc, v17, v18, vcc
	v_pk_mov_b32 v[18:19], s[6:7], s[6:7] op_sel:[0,1]
	v_cmp_ge_i64_e32 vcc, s[8:9], v[18:19]
	s_cbranch_vccnz .LBB94_23
.LBB94_16:                              ;   Parent Loop BB94_12 Depth=1
                                        ; =>  This Loop Header: Depth=2
                                        ;       Child Loop BB94_19 Depth 3
	s_and_saveexec_b64 s[28:29], s[0:1]
	s_cbranch_execz .LBB94_15
; %bb.17:                               ;   in Loop: Header=BB94_16 Depth=2
	s_lshl_b64 s[30:31], s[8:9], 2
	s_add_u32 s30, s16, s30
	s_addc_u32 s31, s17, s31
	s_load_dword s30, s[30:31], 0x0
	s_mul_i32 s31, s33, s8
	s_mul_i32 s34, s36, s9
	v_mov_b32_e32 v18, s8
	s_add_i32 s34, s34, s31
	s_waitcnt lgkmcnt(0)
	s_sub_i32 s35, s30, s10
	v_mad_u64_u32 v[18:19], s[30:31], s36, v18, v[12:13]
	v_add_u32_e32 v19, s34, v19
	s_mul_i32 s41, s35, s11
	s_mov_b64 s[30:31], 0
	v_mov_b32_e32 v26, v25
	v_pk_mov_b32 v[20:21], v[14:15], v[14:15] op_sel:[0,1]
	s_branch .LBB94_19
.LBB94_18:                              ;   in Loop: Header=BB94_19 Depth=3
	v_lshlrev_b64 v[22:23], 3, v[22:23]
	v_add_u32_e32 v28, s41, v20
	v_mov_b32_e32 v27, s19
	v_add_co_u32_e32 v22, vcc, s18, v22
	v_ashrrev_i32_e32 v29, 31, v28
	v_addc_co_u32_e32 v23, vcc, v27, v23, vcc
	v_lshlrev_b64 v[28:29], 4, v[28:29]
	v_mov_b32_e32 v27, s21
	v_add_co_u32_e32 v28, vcc, s20, v28
	v_addc_co_u32_e32 v29, vcc, v27, v29, vcc
	global_load_dwordx2 v[22:23], v[22:23], off
	v_add_co_u32_e32 v20, vcc, 16, v20
	global_load_dwordx4 v[28:31], v[28:29], off
	v_addc_co_u32_e32 v21, vcc, 0, v21, vcc
	v_cmp_le_i32_e32 vcc, s11, v20
	s_or_b64 s[30:31], vcc, s[30:31]
	v_add_u32_e32 v26, s40, v26
	s_waitcnt vmcnt(0)
	v_fmac_f64_e32 v[2:3], v[22:23], v[28:29]
	v_fmac_f64_e32 v[0:1], 0, v[28:29]
	;; [unrolled: 1-line block ×4, first 2 shown]
	s_andn2_b64 exec, exec, s[30:31]
	s_cbranch_execz .LBB94_14
.LBB94_19:                              ;   Parent Loop BB94_12 Depth=1
                                        ;     Parent Loop BB94_16 Depth=2
                                        ; =>    This Inner Loop Header: Depth=3
	s_and_b64 vcc, exec, s[14:15]
	s_cbranch_vccz .LBB94_21
; %bb.20:                               ;   in Loop: Header=BB94_19 Depth=3
	v_ashrrev_i32_e32 v23, 31, v26
	v_add_co_u32_e32 v22, vcc, v18, v26
	v_addc_co_u32_e32 v23, vcc, v19, v23, vcc
	s_cbranch_execnz .LBB94_18
	s_branch .LBB94_22
.LBB94_21:                              ;   in Loop: Header=BB94_19 Depth=3
                                        ; implicit-def: $vgpr22_vgpr23
.LBB94_22:                              ;   in Loop: Header=BB94_19 Depth=3
	v_add_co_u32_e32 v22, vcc, v16, v20
	v_addc_co_u32_e32 v23, vcc, v17, v21, vcc
	s_branch .LBB94_18
.LBB94_23:                              ;   in Loop: Header=BB94_12 Depth=1
	s_nop 0
	v_mov_b32_dpp v16, v2 row_shr:1 row_mask:0xf bank_mask:0xf
	v_mov_b32_dpp v17, v3 row_shr:1 row_mask:0xf bank_mask:0xf
	v_mov_b32_dpp v18, v0 row_shr:1 row_mask:0xf bank_mask:0xf
	v_mov_b32_dpp v19, v1 row_shr:1 row_mask:0xf bank_mask:0xf
	v_add_f64 v[2:3], v[2:3], v[16:17]
	v_add_f64 v[0:1], v[0:1], v[18:19]
	s_nop 0
	v_mov_b32_dpp v16, v2 row_shr:2 row_mask:0xf bank_mask:0xf
	v_mov_b32_dpp v17, v3 row_shr:2 row_mask:0xf bank_mask:0xf
	v_mov_b32_dpp v18, v0 row_shr:2 row_mask:0xf bank_mask:0xf
	v_mov_b32_dpp v19, v1 row_shr:2 row_mask:0xf bank_mask:0xf
	v_add_f64 v[2:3], v[2:3], v[16:17]
	v_add_f64 v[0:1], v[0:1], v[18:19]
	;; [unrolled: 7-line block ×3, first 2 shown]
	s_nop 0
	v_mov_b32_dpp v16, v2 row_shr:8 row_mask:0xf bank_mask:0xc
	v_mov_b32_dpp v17, v3 row_shr:8 row_mask:0xf bank_mask:0xc
	;; [unrolled: 1-line block ×4, first 2 shown]
	s_and_saveexec_b64 s[8:9], s[2:3]
	s_cbranch_execz .LBB94_11
; %bb.24:                               ;   in Loop: Header=BB94_12 Depth=1
	v_add_f64 v[20:21], v[2:3], v[16:17]
	v_add_f64 v[2:3], v[0:1], v[18:19]
	v_mul_f64 v[0:1], v[2:3], -v[6:7]
	v_mul_f64 v[2:3], v[4:5], v[2:3]
	v_add_u32_e32 v16, s37, v12
	v_fmac_f64_e32 v[0:1], v[4:5], v[20:21]
	v_fmac_f64_e32 v[2:3], v[6:7], v[20:21]
	v_ashrrev_i32_e32 v17, 31, v16
	s_and_saveexec_b64 s[28:29], s[26:27]
	s_xor_b64 s[28:29], exec, s[28:29]
	s_cbranch_execz .LBB94_26
; %bb.25:                               ;   in Loop: Header=BB94_12 Depth=1
	v_lshlrev_b64 v[16:17], 4, v[16:17]
	v_mov_b32_e32 v13, s13
	v_add_co_u32_e32 v16, vcc, s12, v16
	v_addc_co_u32_e32 v17, vcc, v13, v17, vcc
	global_store_dwordx4 v[16:17], v[0:3], off
                                        ; implicit-def: $vgpr16
                                        ; implicit-def: $vgpr0_vgpr1
.LBB94_26:                              ;   in Loop: Header=BB94_12 Depth=1
	s_andn2_saveexec_b64 s[28:29], s[28:29]
	s_cbranch_execz .LBB94_11
; %bb.27:                               ;   in Loop: Header=BB94_12 Depth=1
	v_lshlrev_b64 v[16:17], 4, v[16:17]
	v_mov_b32_e32 v13, s13
	v_add_co_u32_e32 v20, vcc, s12, v16
	v_addc_co_u32_e32 v21, vcc, v13, v17, vcc
	global_load_dwordx4 v[16:19], v[20:21], off
	s_waitcnt vmcnt(0)
	v_fmac_f64_e32 v[0:1], v[8:9], v[16:17]
	v_fmac_f64_e32 v[2:3], v[10:11], v[16:17]
	v_fma_f64 v[0:1], -v[10:11], v[18:19], v[0:1]
	v_fmac_f64_e32 v[2:3], v[8:9], v[18:19]
	global_store_dwordx4 v[20:21], v[0:3], off
	s_branch .LBB94_11
.LBB94_28:
	s_endpgm
	.section	.rodata,"a",@progbits
	.p2align	6, 0x0
	.amdhsa_kernel _ZN9rocsparseL22bsrxmvn_general_kernelILj256ELj16E21rocsparse_complex_numIdElidS2_S2_EEv20rocsparse_direction_NS_24const_host_device_scalarIT1_EET3_PKS7_PKT2_SC_S9_PKT4_S7_PKT5_S6_PT6_21rocsparse_index_base_b
		.amdhsa_group_segment_fixed_size 4096
		.amdhsa_private_segment_fixed_size 0
		.amdhsa_kernarg_size 120
		.amdhsa_user_sgpr_count 8
		.amdhsa_user_sgpr_private_segment_buffer 1
		.amdhsa_user_sgpr_dispatch_ptr 1
		.amdhsa_user_sgpr_queue_ptr 0
		.amdhsa_user_sgpr_kernarg_segment_ptr 1
		.amdhsa_user_sgpr_dispatch_id 0
		.amdhsa_user_sgpr_flat_scratch_init 0
		.amdhsa_user_sgpr_kernarg_preload_length 0
		.amdhsa_user_sgpr_kernarg_preload_offset 0
		.amdhsa_user_sgpr_private_segment_size 0
		.amdhsa_uses_dynamic_stack 0
		.amdhsa_system_sgpr_private_segment_wavefront_offset 0
		.amdhsa_system_sgpr_workgroup_id_x 1
		.amdhsa_system_sgpr_workgroup_id_y 0
		.amdhsa_system_sgpr_workgroup_id_z 0
		.amdhsa_system_sgpr_workgroup_info 0
		.amdhsa_system_vgpr_workitem_id 2
		.amdhsa_next_free_vgpr 32
		.amdhsa_next_free_sgpr 42
		.amdhsa_accum_offset 32
		.amdhsa_reserve_vcc 1
		.amdhsa_reserve_flat_scratch 0
		.amdhsa_float_round_mode_32 0
		.amdhsa_float_round_mode_16_64 0
		.amdhsa_float_denorm_mode_32 3
		.amdhsa_float_denorm_mode_16_64 3
		.amdhsa_dx10_clamp 1
		.amdhsa_ieee_mode 1
		.amdhsa_fp16_overflow 0
		.amdhsa_tg_split 0
		.amdhsa_exception_fp_ieee_invalid_op 0
		.amdhsa_exception_fp_denorm_src 0
		.amdhsa_exception_fp_ieee_div_zero 0
		.amdhsa_exception_fp_ieee_overflow 0
		.amdhsa_exception_fp_ieee_underflow 0
		.amdhsa_exception_fp_ieee_inexact 0
		.amdhsa_exception_int_div_zero 0
	.end_amdhsa_kernel
	.section	.text._ZN9rocsparseL22bsrxmvn_general_kernelILj256ELj16E21rocsparse_complex_numIdElidS2_S2_EEv20rocsparse_direction_NS_24const_host_device_scalarIT1_EET3_PKS7_PKT2_SC_S9_PKT4_S7_PKT5_S6_PT6_21rocsparse_index_base_b,"axG",@progbits,_ZN9rocsparseL22bsrxmvn_general_kernelILj256ELj16E21rocsparse_complex_numIdElidS2_S2_EEv20rocsparse_direction_NS_24const_host_device_scalarIT1_EET3_PKS7_PKT2_SC_S9_PKT4_S7_PKT5_S6_PT6_21rocsparse_index_base_b,comdat
.Lfunc_end94:
	.size	_ZN9rocsparseL22bsrxmvn_general_kernelILj256ELj16E21rocsparse_complex_numIdElidS2_S2_EEv20rocsparse_direction_NS_24const_host_device_scalarIT1_EET3_PKS7_PKT2_SC_S9_PKT4_S7_PKT5_S6_PT6_21rocsparse_index_base_b, .Lfunc_end94-_ZN9rocsparseL22bsrxmvn_general_kernelILj256ELj16E21rocsparse_complex_numIdElidS2_S2_EEv20rocsparse_direction_NS_24const_host_device_scalarIT1_EET3_PKS7_PKT2_SC_S9_PKT4_S7_PKT5_S6_PT6_21rocsparse_index_base_b
                                        ; -- End function
	.section	.AMDGPU.csdata,"",@progbits
; Kernel info:
; codeLenInByte = 1412
; NumSgprs: 46
; NumVgprs: 32
; NumAgprs: 0
; TotalNumVgprs: 32
; ScratchSize: 0
; MemoryBound: 0
; FloatMode: 240
; IeeeMode: 1
; LDSByteSize: 4096 bytes/workgroup (compile time only)
; SGPRBlocks: 5
; VGPRBlocks: 3
; NumSGPRsForWavesPerEU: 46
; NumVGPRsForWavesPerEU: 32
; AccumOffset: 32
; Occupancy: 8
; WaveLimiterHint : 1
; COMPUTE_PGM_RSRC2:SCRATCH_EN: 0
; COMPUTE_PGM_RSRC2:USER_SGPR: 8
; COMPUTE_PGM_RSRC2:TRAP_HANDLER: 0
; COMPUTE_PGM_RSRC2:TGID_X_EN: 1
; COMPUTE_PGM_RSRC2:TGID_Y_EN: 0
; COMPUTE_PGM_RSRC2:TGID_Z_EN: 0
; COMPUTE_PGM_RSRC2:TIDIG_COMP_CNT: 2
; COMPUTE_PGM_RSRC3_GFX90A:ACCUM_OFFSET: 7
; COMPUTE_PGM_RSRC3_GFX90A:TG_SPLIT: 0
	.section	.text._ZN9rocsparseL22bsrxmvn_general_kernelILj1024ELj32E21rocsparse_complex_numIdElidS2_S2_EEv20rocsparse_direction_NS_24const_host_device_scalarIT1_EET3_PKS7_PKT2_SC_S9_PKT4_S7_PKT5_S6_PT6_21rocsparse_index_base_b,"axG",@progbits,_ZN9rocsparseL22bsrxmvn_general_kernelILj1024ELj32E21rocsparse_complex_numIdElidS2_S2_EEv20rocsparse_direction_NS_24const_host_device_scalarIT1_EET3_PKS7_PKT2_SC_S9_PKT4_S7_PKT5_S6_PT6_21rocsparse_index_base_b,comdat
	.globl	_ZN9rocsparseL22bsrxmvn_general_kernelILj1024ELj32E21rocsparse_complex_numIdElidS2_S2_EEv20rocsparse_direction_NS_24const_host_device_scalarIT1_EET3_PKS7_PKT2_SC_S9_PKT4_S7_PKT5_S6_PT6_21rocsparse_index_base_b ; -- Begin function _ZN9rocsparseL22bsrxmvn_general_kernelILj1024ELj32E21rocsparse_complex_numIdElidS2_S2_EEv20rocsparse_direction_NS_24const_host_device_scalarIT1_EET3_PKS7_PKT2_SC_S9_PKT4_S7_PKT5_S6_PT6_21rocsparse_index_base_b
	.p2align	8
	.type	_ZN9rocsparseL22bsrxmvn_general_kernelILj1024ELj32E21rocsparse_complex_numIdElidS2_S2_EEv20rocsparse_direction_NS_24const_host_device_scalarIT1_EET3_PKS7_PKT2_SC_S9_PKT4_S7_PKT5_S6_PT6_21rocsparse_index_base_b,@function
_ZN9rocsparseL22bsrxmvn_general_kernelILj1024ELj32E21rocsparse_complex_numIdElidS2_S2_EEv20rocsparse_direction_NS_24const_host_device_scalarIT1_EET3_PKS7_PKT2_SC_S9_PKT4_S7_PKT5_S6_PT6_21rocsparse_index_base_b: ; @_ZN9rocsparseL22bsrxmvn_general_kernelILj1024ELj32E21rocsparse_complex_numIdElidS2_S2_EEv20rocsparse_direction_NS_24const_host_device_scalarIT1_EET3_PKS7_PKT2_SC_S9_PKT4_S7_PKT5_S6_PT6_21rocsparse_index_base_b
; %bb.0:
	s_load_dwordx2 s[10:11], s[6:7], 0x70
	s_load_dwordx4 s[12:15], s[6:7], 0x8
	s_load_dwordx2 s[20:21], s[4:5], 0x4
	s_load_dwordx4 s[16:19], s[6:7], 0x58
	s_mov_b64 s[2:3], src_shared_base
	v_and_b32_e32 v1, 0x3ff, v0
	s_waitcnt lgkmcnt(0)
	s_bitcmp1_b32 s11, 0
	s_cselect_b64 s[0:1], -1, 0
	s_and_b64 vcc, s[0:1], exec
	s_cselect_b32 s2, s3, s13
	s_lshr_b32 s4, s20, 16
	s_mul_i32 s4, s4, s21
	v_mul_lo_u32 v2, s4, v1
	v_bfe_u32 v3, v0, 10, 10
	v_mad_u32_u24 v2, v3, s21, v2
	v_bfe_u32 v0, v0, 20, 10
	v_add_lshl_u32 v0, v2, v0, 3
	v_mov_b32_e32 v6, s12
	v_add_u32_e32 v7, 0x2000, v0
	v_pk_mov_b32 v[2:3], s[12:13], s[12:13] op_sel:[0,1]
	v_pk_mov_b32 v[4:5], s[16:17], s[16:17] op_sel:[0,1]
	ds_write2st64_b64 v0, v[4:5], v[2:3] offset1:16
	v_cndmask_b32_e64 v2, v6, v7, s[0:1]
	v_mov_b32_e32 v3, s2
	flat_load_dwordx2 v[4:5], v[2:3]
	s_xor_b64 s[4:5], s[0:1], -1
	v_pk_mov_b32 v[6:7], s[14:15], s[14:15] op_sel:[0,1]
	s_cbranch_vccnz .LBB95_2
; %bb.1:
	v_pk_mov_b32 v[2:3], s[12:13], s[12:13] op_sel:[0,1]
	flat_load_dwordx2 v[6:7], v[2:3] offset:8
.LBB95_2:
	s_and_b64 s[12:13], s[0:1], exec
	s_cselect_b32 s2, s3, s17
	v_mov_b32_e32 v2, s16
	v_cndmask_b32_e64 v2, v2, v0, s[0:1]
	v_mov_b32_e32 v3, s2
	flat_load_dwordx2 v[8:9], v[2:3]
	s_andn2_b64 vcc, exec, s[4:5]
	v_pk_mov_b32 v[10:11], s[18:19], s[18:19] op_sel:[0,1]
	s_cbranch_vccnz .LBB95_4
; %bb.3:
	v_pk_mov_b32 v[2:3], s[16:17], s[16:17] op_sel:[0,1]
	flat_load_dwordx2 v[10:11], v[2:3] offset:8
.LBB95_4:
	s_waitcnt vmcnt(0) lgkmcnt(0)
	v_cmp_eq_f64_e32 vcc, 0, v[4:5]
	v_cmp_eq_f64_e64 s[0:1], 0, v[6:7]
	s_and_b64 s[4:5], vcc, s[0:1]
	s_mov_b64 s[0:1], -1
	s_and_saveexec_b64 s[2:3], s[4:5]
; %bb.5:
	v_cmp_neq_f64_e32 vcc, 1.0, v[8:9]
	v_cmp_neq_f64_e64 s[0:1], 0, v[10:11]
	s_or_b64 s[0:1], vcc, s[0:1]
	s_orn2_b64 s[0:1], s[0:1], exec
; %bb.6:
	s_or_b64 exec, exec, s[2:3]
	s_and_saveexec_b64 s[2:3], s[0:1]
	s_cbranch_execz .LBB95_28
; %bb.7:
	s_load_dwordx2 s[0:1], s[6:7], 0x20
	s_waitcnt lgkmcnt(0)
	s_cmp_eq_u64 s[0:1], 0
	s_cbranch_scc1 .LBB95_9
; %bb.8:
	s_ashr_i32 s9, s8, 31
	s_lshl_b64 s[2:3], s[8:9], 2
	s_add_u32 s0, s0, s2
	s_addc_u32 s1, s1, s3
	s_load_dword s0, s[0:1], 0x0
	s_waitcnt lgkmcnt(0)
	s_sub_i32 s8, s0, s10
.LBB95_9:
	s_load_dword s11, s[6:7], 0x48
	v_lshrrev_b32_e32 v12, 5, v1
	s_waitcnt lgkmcnt(0)
	v_cmp_gt_i32_e32 vcc, s11, v12
	s_and_b64 exec, exec, vcc
	s_cbranch_execz .LBB95_28
; %bb.10:
	s_load_dwordx8 s[12:19], s[6:7], 0x28
	s_ashr_i32 s9, s8, 31
	s_lshl_b64 s[0:1], s[8:9], 3
	v_and_b32_e32 v14, 31, v1
	s_mul_hi_u32 s33, s11, s11
	s_waitcnt lgkmcnt(0)
	s_add_u32 s2, s12, s0
	s_addc_u32 s3, s13, s1
	s_load_dwordx2 s[28:29], s[2:3], 0x0
	s_load_dwordx2 s[12:13], s[6:7], 0x68
	;; [unrolled: 1-line block ×3, first 2 shown]
	s_mul_i32 s36, s11, s11
	v_cmp_eq_f64_e32 vcc, 0, v[8:9]
	s_waitcnt lgkmcnt(0)
	s_sub_u32 s24, s28, s10
	s_subb_u32 s25, s29, 0
	s_add_u32 s2, s2, 8
	s_addc_u32 s3, s3, 0
	s_add_u32 s0, s14, s0
	s_addc_u32 s1, s15, s1
	s_cmp_eq_u64 s[14:15], 0
	s_cselect_b32 s1, s3, s1
	s_cselect_b32 s0, s2, s0
	s_load_dwordx2 s[2:3], s[0:1], 0x0
	s_load_dword s4, s[6:7], 0x0
	v_mov_b32_e32 v13, 0
	s_mov_b64 s[22:23], 0
	v_cmp_gt_u32_e64 s[0:1], s11, v14
	s_waitcnt lgkmcnt(0)
	s_sub_u32 s6, s2, s10
	s_subb_u32 s7, s3, 0
	v_pk_mov_b32 v[0:1], s[2:3], s[2:3] op_sel:[0,1]
	s_cmp_lg_u32 s4, 0
	v_cmp_eq_f64_e64 s[4:5], 0, v[10:11]
	s_cselect_b64 s[14:15], -1, 0
	s_and_b64 s[26:27], vcc, s[4:5]
	s_mul_i32 s4, s24, s33
	s_mul_hi_u32 s5, s24, s36
	v_cmp_lt_i64_e32 vcc, s[28:29], v[0:1]
	s_add_i32 s4, s5, s4
	s_mul_i32 s5, s25, s36
	v_cndmask_b32_e64 v0, 0, 1, vcc
	v_cmp_eq_u32_e64 s[2:3], 31, v14
	s_mul_i32 s37, s8, s11
	s_add_i32 s38, s4, s5
	s_mul_i32 s39, s24, s36
	v_mul_lo_u32 v24, s11, v12
	s_lshl_b32 s40, s11, 5
	v_mov_b32_e32 v15, v13
	v_mul_lo_u32 v25, s11, v14
	v_cmp_ne_u32_e64 s[4:5], 1, v0
	s_branch .LBB95_12
.LBB95_11:                              ;   in Loop: Header=BB95_12 Depth=1
	s_or_b64 exec, exec, s[8:9]
	v_add_u32_e32 v12, 32, v12
	v_cmp_le_i32_e32 vcc, s11, v12
	s_or_b64 s[22:23], vcc, s[22:23]
	v_add_u32_e32 v24, s40, v24
	s_andn2_b64 exec, exec, s[22:23]
	s_cbranch_execz .LBB95_28
.LBB95_12:                              ; =>This Loop Header: Depth=1
                                        ;     Child Loop BB95_16 Depth 2
                                        ;       Child Loop BB95_19 Depth 3
	v_pk_mov_b32 v[0:1], 0, 0
	s_and_b64 vcc, exec, s[4:5]
	v_pk_mov_b32 v[2:3], v[0:1], v[0:1] op_sel:[0,1]
	s_cbranch_vccnz .LBB95_23
; %bb.13:                               ;   in Loop: Header=BB95_12 Depth=1
	v_ashrrev_i32_e32 v0, 31, v24
	v_mov_b32_e32 v1, s38
	v_add_co_u32_e32 v16, vcc, s39, v24
	v_addc_co_u32_e32 v17, vcc, v1, v0, vcc
	v_pk_mov_b32 v[0:1], 0, 0
	s_mov_b64 s[8:9], s[24:25]
	v_pk_mov_b32 v[2:3], v[0:1], v[0:1] op_sel:[0,1]
	s_branch .LBB95_16
.LBB95_14:                              ;   in Loop: Header=BB95_16 Depth=2
	s_or_b64 exec, exec, s[30:31]
.LBB95_15:                              ;   in Loop: Header=BB95_16 Depth=2
	s_or_b64 exec, exec, s[28:29]
	s_add_u32 s8, s8, 1
	v_mov_b32_e32 v18, s33
	v_add_co_u32_e32 v16, vcc, s36, v16
	s_addc_u32 s9, s9, 0
	v_addc_co_u32_e32 v17, vcc, v17, v18, vcc
	v_pk_mov_b32 v[18:19], s[6:7], s[6:7] op_sel:[0,1]
	v_cmp_ge_i64_e32 vcc, s[8:9], v[18:19]
	s_cbranch_vccnz .LBB95_23
.LBB95_16:                              ;   Parent Loop BB95_12 Depth=1
                                        ; =>  This Loop Header: Depth=2
                                        ;       Child Loop BB95_19 Depth 3
	s_and_saveexec_b64 s[28:29], s[0:1]
	s_cbranch_execz .LBB95_15
; %bb.17:                               ;   in Loop: Header=BB95_16 Depth=2
	s_lshl_b64 s[30:31], s[8:9], 2
	s_add_u32 s30, s16, s30
	s_addc_u32 s31, s17, s31
	s_load_dword s30, s[30:31], 0x0
	s_mul_i32 s31, s33, s8
	s_mul_i32 s34, s36, s9
	v_mov_b32_e32 v18, s8
	s_add_i32 s34, s34, s31
	s_waitcnt lgkmcnt(0)
	s_sub_i32 s35, s30, s10
	v_mad_u64_u32 v[18:19], s[30:31], s36, v18, v[12:13]
	v_add_u32_e32 v19, s34, v19
	s_mul_i32 s41, s35, s11
	s_mov_b64 s[30:31], 0
	v_mov_b32_e32 v26, v25
	v_pk_mov_b32 v[20:21], v[14:15], v[14:15] op_sel:[0,1]
	s_branch .LBB95_19
.LBB95_18:                              ;   in Loop: Header=BB95_19 Depth=3
	v_lshlrev_b64 v[22:23], 3, v[22:23]
	v_add_u32_e32 v28, s41, v20
	v_mov_b32_e32 v27, s19
	v_add_co_u32_e32 v22, vcc, s18, v22
	v_ashrrev_i32_e32 v29, 31, v28
	v_addc_co_u32_e32 v23, vcc, v27, v23, vcc
	v_lshlrev_b64 v[28:29], 4, v[28:29]
	v_mov_b32_e32 v27, s21
	v_add_co_u32_e32 v28, vcc, s20, v28
	v_addc_co_u32_e32 v29, vcc, v27, v29, vcc
	global_load_dwordx2 v[22:23], v[22:23], off
	v_add_co_u32_e32 v20, vcc, 32, v20
	global_load_dwordx4 v[28:31], v[28:29], off
	v_addc_co_u32_e32 v21, vcc, 0, v21, vcc
	v_cmp_le_i32_e32 vcc, s11, v20
	s_or_b64 s[30:31], vcc, s[30:31]
	v_add_u32_e32 v26, s40, v26
	s_waitcnt vmcnt(0)
	v_fmac_f64_e32 v[2:3], v[22:23], v[28:29]
	v_fmac_f64_e32 v[0:1], 0, v[28:29]
	;; [unrolled: 1-line block ×4, first 2 shown]
	s_andn2_b64 exec, exec, s[30:31]
	s_cbranch_execz .LBB95_14
.LBB95_19:                              ;   Parent Loop BB95_12 Depth=1
                                        ;     Parent Loop BB95_16 Depth=2
                                        ; =>    This Inner Loop Header: Depth=3
	s_and_b64 vcc, exec, s[14:15]
	s_cbranch_vccz .LBB95_21
; %bb.20:                               ;   in Loop: Header=BB95_19 Depth=3
	v_ashrrev_i32_e32 v23, 31, v26
	v_add_co_u32_e32 v22, vcc, v18, v26
	v_addc_co_u32_e32 v23, vcc, v19, v23, vcc
	s_cbranch_execnz .LBB95_18
	s_branch .LBB95_22
.LBB95_21:                              ;   in Loop: Header=BB95_19 Depth=3
                                        ; implicit-def: $vgpr22_vgpr23
.LBB95_22:                              ;   in Loop: Header=BB95_19 Depth=3
	v_add_co_u32_e32 v22, vcc, v16, v20
	v_addc_co_u32_e32 v23, vcc, v17, v21, vcc
	s_branch .LBB95_18
.LBB95_23:                              ;   in Loop: Header=BB95_12 Depth=1
	s_nop 0
	v_mov_b32_dpp v16, v2 row_shr:1 row_mask:0xf bank_mask:0xf
	v_mov_b32_dpp v17, v3 row_shr:1 row_mask:0xf bank_mask:0xf
	v_mov_b32_dpp v18, v0 row_shr:1 row_mask:0xf bank_mask:0xf
	v_mov_b32_dpp v19, v1 row_shr:1 row_mask:0xf bank_mask:0xf
	v_add_f64 v[2:3], v[2:3], v[16:17]
	v_add_f64 v[0:1], v[0:1], v[18:19]
	s_nop 0
	v_mov_b32_dpp v16, v2 row_shr:2 row_mask:0xf bank_mask:0xf
	v_mov_b32_dpp v17, v3 row_shr:2 row_mask:0xf bank_mask:0xf
	v_mov_b32_dpp v18, v0 row_shr:2 row_mask:0xf bank_mask:0xf
	v_mov_b32_dpp v19, v1 row_shr:2 row_mask:0xf bank_mask:0xf
	v_add_f64 v[2:3], v[2:3], v[16:17]
	v_add_f64 v[0:1], v[0:1], v[18:19]
	;; [unrolled: 7-line block ×4, first 2 shown]
	s_nop 0
	v_mov_b32_dpp v16, v2 row_bcast:15 row_mask:0xa bank_mask:0xf
	v_mov_b32_dpp v17, v3 row_bcast:15 row_mask:0xa bank_mask:0xf
	;; [unrolled: 1-line block ×4, first 2 shown]
	s_and_saveexec_b64 s[8:9], s[2:3]
	s_cbranch_execz .LBB95_11
; %bb.24:                               ;   in Loop: Header=BB95_12 Depth=1
	v_add_f64 v[20:21], v[2:3], v[16:17]
	v_add_f64 v[2:3], v[0:1], v[18:19]
	v_mul_f64 v[0:1], v[2:3], -v[6:7]
	v_mul_f64 v[2:3], v[4:5], v[2:3]
	v_add_u32_e32 v16, s37, v12
	v_fmac_f64_e32 v[0:1], v[4:5], v[20:21]
	v_fmac_f64_e32 v[2:3], v[6:7], v[20:21]
	v_ashrrev_i32_e32 v17, 31, v16
	s_and_saveexec_b64 s[28:29], s[26:27]
	s_xor_b64 s[28:29], exec, s[28:29]
	s_cbranch_execz .LBB95_26
; %bb.25:                               ;   in Loop: Header=BB95_12 Depth=1
	v_lshlrev_b64 v[16:17], 4, v[16:17]
	v_mov_b32_e32 v18, s13
	v_add_co_u32_e32 v16, vcc, s12, v16
	v_addc_co_u32_e32 v17, vcc, v18, v17, vcc
	global_store_dwordx4 v[16:17], v[0:3], off
                                        ; implicit-def: $vgpr16
                                        ; implicit-def: $vgpr0_vgpr1
.LBB95_26:                              ;   in Loop: Header=BB95_12 Depth=1
	s_andn2_saveexec_b64 s[28:29], s[28:29]
	s_cbranch_execz .LBB95_11
; %bb.27:                               ;   in Loop: Header=BB95_12 Depth=1
	v_lshlrev_b64 v[16:17], 4, v[16:17]
	v_mov_b32_e32 v18, s13
	v_add_co_u32_e32 v20, vcc, s12, v16
	v_addc_co_u32_e32 v21, vcc, v18, v17, vcc
	global_load_dwordx4 v[16:19], v[20:21], off
	s_waitcnt vmcnt(0)
	v_fmac_f64_e32 v[0:1], v[8:9], v[16:17]
	v_fmac_f64_e32 v[2:3], v[10:11], v[16:17]
	v_fma_f64 v[0:1], -v[10:11], v[18:19], v[0:1]
	v_fmac_f64_e32 v[2:3], v[8:9], v[18:19]
	global_store_dwordx4 v[20:21], v[0:3], off
	s_branch .LBB95_11
.LBB95_28:
	s_endpgm
	.section	.rodata,"a",@progbits
	.p2align	6, 0x0
	.amdhsa_kernel _ZN9rocsparseL22bsrxmvn_general_kernelILj1024ELj32E21rocsparse_complex_numIdElidS2_S2_EEv20rocsparse_direction_NS_24const_host_device_scalarIT1_EET3_PKS7_PKT2_SC_S9_PKT4_S7_PKT5_S6_PT6_21rocsparse_index_base_b
		.amdhsa_group_segment_fixed_size 16384
		.amdhsa_private_segment_fixed_size 0
		.amdhsa_kernarg_size 120
		.amdhsa_user_sgpr_count 8
		.amdhsa_user_sgpr_private_segment_buffer 1
		.amdhsa_user_sgpr_dispatch_ptr 1
		.amdhsa_user_sgpr_queue_ptr 0
		.amdhsa_user_sgpr_kernarg_segment_ptr 1
		.amdhsa_user_sgpr_dispatch_id 0
		.amdhsa_user_sgpr_flat_scratch_init 0
		.amdhsa_user_sgpr_kernarg_preload_length 0
		.amdhsa_user_sgpr_kernarg_preload_offset 0
		.amdhsa_user_sgpr_private_segment_size 0
		.amdhsa_uses_dynamic_stack 0
		.amdhsa_system_sgpr_private_segment_wavefront_offset 0
		.amdhsa_system_sgpr_workgroup_id_x 1
		.amdhsa_system_sgpr_workgroup_id_y 0
		.amdhsa_system_sgpr_workgroup_id_z 0
		.amdhsa_system_sgpr_workgroup_info 0
		.amdhsa_system_vgpr_workitem_id 2
		.amdhsa_next_free_vgpr 32
		.amdhsa_next_free_sgpr 42
		.amdhsa_accum_offset 32
		.amdhsa_reserve_vcc 1
		.amdhsa_reserve_flat_scratch 0
		.amdhsa_float_round_mode_32 0
		.amdhsa_float_round_mode_16_64 0
		.amdhsa_float_denorm_mode_32 3
		.amdhsa_float_denorm_mode_16_64 3
		.amdhsa_dx10_clamp 1
		.amdhsa_ieee_mode 1
		.amdhsa_fp16_overflow 0
		.amdhsa_tg_split 0
		.amdhsa_exception_fp_ieee_invalid_op 0
		.amdhsa_exception_fp_denorm_src 0
		.amdhsa_exception_fp_ieee_div_zero 0
		.amdhsa_exception_fp_ieee_overflow 0
		.amdhsa_exception_fp_ieee_underflow 0
		.amdhsa_exception_fp_ieee_inexact 0
		.amdhsa_exception_int_div_zero 0
	.end_amdhsa_kernel
	.section	.text._ZN9rocsparseL22bsrxmvn_general_kernelILj1024ELj32E21rocsparse_complex_numIdElidS2_S2_EEv20rocsparse_direction_NS_24const_host_device_scalarIT1_EET3_PKS7_PKT2_SC_S9_PKT4_S7_PKT5_S6_PT6_21rocsparse_index_base_b,"axG",@progbits,_ZN9rocsparseL22bsrxmvn_general_kernelILj1024ELj32E21rocsparse_complex_numIdElidS2_S2_EEv20rocsparse_direction_NS_24const_host_device_scalarIT1_EET3_PKS7_PKT2_SC_S9_PKT4_S7_PKT5_S6_PT6_21rocsparse_index_base_b,comdat
.Lfunc_end95:
	.size	_ZN9rocsparseL22bsrxmvn_general_kernelILj1024ELj32E21rocsparse_complex_numIdElidS2_S2_EEv20rocsparse_direction_NS_24const_host_device_scalarIT1_EET3_PKS7_PKT2_SC_S9_PKT4_S7_PKT5_S6_PT6_21rocsparse_index_base_b, .Lfunc_end95-_ZN9rocsparseL22bsrxmvn_general_kernelILj1024ELj32E21rocsparse_complex_numIdElidS2_S2_EEv20rocsparse_direction_NS_24const_host_device_scalarIT1_EET3_PKS7_PKT2_SC_S9_PKT4_S7_PKT5_S6_PT6_21rocsparse_index_base_b
                                        ; -- End function
	.section	.AMDGPU.csdata,"",@progbits
; Kernel info:
; codeLenInByte = 1464
; NumSgprs: 46
; NumVgprs: 32
; NumAgprs: 0
; TotalNumVgprs: 32
; ScratchSize: 0
; MemoryBound: 0
; FloatMode: 240
; IeeeMode: 1
; LDSByteSize: 16384 bytes/workgroup (compile time only)
; SGPRBlocks: 5
; VGPRBlocks: 3
; NumSGPRsForWavesPerEU: 46
; NumVGPRsForWavesPerEU: 32
; AccumOffset: 32
; Occupancy: 8
; WaveLimiterHint : 1
; COMPUTE_PGM_RSRC2:SCRATCH_EN: 0
; COMPUTE_PGM_RSRC2:USER_SGPR: 8
; COMPUTE_PGM_RSRC2:TRAP_HANDLER: 0
; COMPUTE_PGM_RSRC2:TGID_X_EN: 1
; COMPUTE_PGM_RSRC2:TGID_Y_EN: 0
; COMPUTE_PGM_RSRC2:TGID_Z_EN: 0
; COMPUTE_PGM_RSRC2:TIDIG_COMP_CNT: 2
; COMPUTE_PGM_RSRC3_GFX90A:ACCUM_OFFSET: 7
; COMPUTE_PGM_RSRC3_GFX90A:TG_SPLIT: 0
	.section	.text._ZN9rocsparseL22bsrxmvn_general_kernelILj64ELj8E21rocsparse_complex_numIdElldS2_S2_EEv20rocsparse_direction_NS_24const_host_device_scalarIT1_EET3_PKS7_PKT2_SC_S9_PKT4_S7_PKT5_S6_PT6_21rocsparse_index_base_b,"axG",@progbits,_ZN9rocsparseL22bsrxmvn_general_kernelILj64ELj8E21rocsparse_complex_numIdElldS2_S2_EEv20rocsparse_direction_NS_24const_host_device_scalarIT1_EET3_PKS7_PKT2_SC_S9_PKT4_S7_PKT5_S6_PT6_21rocsparse_index_base_b,comdat
	.globl	_ZN9rocsparseL22bsrxmvn_general_kernelILj64ELj8E21rocsparse_complex_numIdElldS2_S2_EEv20rocsparse_direction_NS_24const_host_device_scalarIT1_EET3_PKS7_PKT2_SC_S9_PKT4_S7_PKT5_S6_PT6_21rocsparse_index_base_b ; -- Begin function _ZN9rocsparseL22bsrxmvn_general_kernelILj64ELj8E21rocsparse_complex_numIdElldS2_S2_EEv20rocsparse_direction_NS_24const_host_device_scalarIT1_EET3_PKS7_PKT2_SC_S9_PKT4_S7_PKT5_S6_PT6_21rocsparse_index_base_b
	.p2align	8
	.type	_ZN9rocsparseL22bsrxmvn_general_kernelILj64ELj8E21rocsparse_complex_numIdElldS2_S2_EEv20rocsparse_direction_NS_24const_host_device_scalarIT1_EET3_PKS7_PKT2_SC_S9_PKT4_S7_PKT5_S6_PT6_21rocsparse_index_base_b,@function
_ZN9rocsparseL22bsrxmvn_general_kernelILj64ELj8E21rocsparse_complex_numIdElldS2_S2_EEv20rocsparse_direction_NS_24const_host_device_scalarIT1_EET3_PKS7_PKT2_SC_S9_PKT4_S7_PKT5_S6_PT6_21rocsparse_index_base_b: ; @_ZN9rocsparseL22bsrxmvn_general_kernelILj64ELj8E21rocsparse_complex_numIdElldS2_S2_EEv20rocsparse_direction_NS_24const_host_device_scalarIT1_EET3_PKS7_PKT2_SC_S9_PKT4_S7_PKT5_S6_PT6_21rocsparse_index_base_b
; %bb.0:
	s_load_dwordx2 s[10:11], s[6:7], 0x70
	s_load_dwordx4 s[12:15], s[6:7], 0x8
	s_load_dwordx2 s[20:21], s[4:5], 0x4
	s_load_dwordx4 s[16:19], s[6:7], 0x58
	s_mov_b64 s[2:3], src_shared_base
	v_bfe_u32 v2, v0, 10, 10
	s_waitcnt lgkmcnt(0)
	s_bitcmp1_b32 s11, 0
	s_cselect_b64 s[0:1], -1, 0
	s_and_b64 vcc, s[0:1], exec
	s_cselect_b32 s2, s3, s13
	s_lshr_b32 s4, s20, 16
	v_and_b32_e32 v1, 0x3ff, v0
	s_mul_i32 s4, s4, s21
	v_mul_u32_u24_e32 v2, s21, v2
	v_mad_u32_u24 v2, s4, v1, v2
	v_bfe_u32 v0, v0, 20, 10
	v_add_lshl_u32 v0, v2, v0, 3
	v_mov_b32_e32 v6, s12
	v_add_u32_e32 v7, 0x200, v0
	v_pk_mov_b32 v[2:3], s[12:13], s[12:13] op_sel:[0,1]
	v_pk_mov_b32 v[4:5], s[16:17], s[16:17] op_sel:[0,1]
	ds_write2st64_b64 v0, v[4:5], v[2:3] offset1:1
	v_cndmask_b32_e64 v2, v6, v7, s[0:1]
	v_mov_b32_e32 v3, s2
	flat_load_dwordx2 v[4:5], v[2:3]
	s_xor_b64 s[4:5], s[0:1], -1
	v_pk_mov_b32 v[6:7], s[14:15], s[14:15] op_sel:[0,1]
	s_cbranch_vccnz .LBB96_2
; %bb.1:
	v_pk_mov_b32 v[2:3], s[12:13], s[12:13] op_sel:[0,1]
	flat_load_dwordx2 v[6:7], v[2:3] offset:8
.LBB96_2:
	s_and_b64 s[12:13], s[0:1], exec
	s_cselect_b32 s2, s3, s17
	v_mov_b32_e32 v2, s16
	v_cndmask_b32_e64 v2, v2, v0, s[0:1]
	v_mov_b32_e32 v3, s2
	flat_load_dwordx2 v[8:9], v[2:3]
	s_andn2_b64 vcc, exec, s[4:5]
	v_pk_mov_b32 v[10:11], s[18:19], s[18:19] op_sel:[0,1]
	s_cbranch_vccnz .LBB96_4
; %bb.3:
	v_pk_mov_b32 v[2:3], s[16:17], s[16:17] op_sel:[0,1]
	flat_load_dwordx2 v[10:11], v[2:3] offset:8
.LBB96_4:
	s_waitcnt vmcnt(0) lgkmcnt(0)
	v_cmp_eq_f64_e32 vcc, 0, v[4:5]
	v_cmp_eq_f64_e64 s[0:1], 0, v[6:7]
	s_and_b64 s[4:5], vcc, s[0:1]
	s_mov_b64 s[0:1], -1
	s_and_saveexec_b64 s[2:3], s[4:5]
; %bb.5:
	v_cmp_neq_f64_e32 vcc, 1.0, v[8:9]
	v_cmp_neq_f64_e64 s[0:1], 0, v[10:11]
	s_or_b64 s[0:1], vcc, s[0:1]
	s_orn2_b64 s[0:1], s[0:1], exec
; %bb.6:
	s_or_b64 exec, exec, s[2:3]
	s_and_saveexec_b64 s[2:3], s[0:1]
	s_cbranch_execz .LBB96_28
; %bb.7:
	s_load_dwordx2 s[0:1], s[6:7], 0x20
	s_mov_b32 s9, 0
	s_waitcnt lgkmcnt(0)
	s_cmp_eq_u64 s[0:1], 0
	s_cbranch_scc1 .LBB96_9
; %bb.8:
	s_lshl_b64 s[2:3], s[8:9], 3
	s_add_u32 s0, s0, s2
	s_addc_u32 s1, s1, s3
	s_load_dwordx2 s[0:1], s[0:1], 0x0
	s_waitcnt lgkmcnt(0)
	s_sub_u32 s8, s0, s10
	s_subb_u32 s9, s1, 0
.LBB96_9:
	s_load_dwordx2 s[20:21], s[6:7], 0x48
	v_lshrrev_b32_e32 v12, 3, v1
	v_mov_b32_e32 v13, 0
	s_waitcnt lgkmcnt(0)
	v_cmp_gt_i64_e32 vcc, s[20:21], v[12:13]
	s_and_b64 exec, exec, vcc
	s_cbranch_execz .LBB96_28
; %bb.10:
	s_load_dwordx8 s[12:19], s[6:7], 0x28
	s_lshl_b64 s[0:1], s[8:9], 3
	v_and_b32_e32 v14, 7, v1
	v_cmp_eq_f64_e32 vcc, 0, v[8:9]
	v_lshlrev_b32_e32 v2, 4, v14
	s_waitcnt lgkmcnt(0)
	s_add_u32 s2, s12, s0
	s_addc_u32 s3, s13, s1
	s_load_dwordx2 s[30:31], s[2:3], 0x0
	s_load_dwordx2 s[28:29], s[6:7], 0x68
	;; [unrolled: 1-line block ×3, first 2 shown]
	v_mov_b32_e32 v15, v13
	s_mov_b64 s[12:13], 0
	s_waitcnt lgkmcnt(0)
	s_sub_u32 s22, s30, s10
	s_subb_u32 s23, s31, 0
	s_add_u32 s2, s2, 8
	s_addc_u32 s3, s3, 0
	s_add_u32 s0, s14, s0
	s_addc_u32 s1, s15, s1
	s_cmp_eq_u64 s[14:15], 0
	s_cselect_b32 s1, s3, s1
	s_cselect_b32 s0, s2, s0
	s_load_dwordx2 s[4:5], s[0:1], 0x0
	s_load_dword s11, s[6:7], 0x0
	v_mov_b32_e32 v3, s35
	v_cmp_gt_u64_e64 s[0:1], s[20:21], v[14:15]
	v_cmp_eq_u32_e64 s[2:3], 7, v14
	s_waitcnt lgkmcnt(0)
	s_sub_u32 s14, s4, s10
	s_subb_u32 s15, s5, 0
	v_pk_mov_b32 v[0:1], s[4:5], s[4:5] op_sel:[0,1]
	s_cmp_lg_u32 s11, 0
	v_cmp_eq_f64_e64 s[4:5], 0, v[10:11]
	s_cselect_b64 s[24:25], -1, 0
	s_and_b64 s[26:27], vcc, s[4:5]
	s_mul_i32 s4, s8, s21
	s_mul_hi_u32 s5, s8, s20
	s_add_i32 s4, s5, s4
	s_mul_i32 s5, s9, s20
	s_add_i32 s5, s4, s5
	s_mul_i32 s4, s8, s20
	s_lshl_b64 s[4:5], s[4:5], 4
	v_add_co_u32_e32 v2, vcc, s34, v2
	s_add_u32 s11, s28, s4
	v_addc_co_u32_e32 v3, vcc, 0, v3, vcc
	s_addc_u32 s33, s29, s5
	v_add_co_u32_e32 v16, vcc, 8, v2
	s_mul_i32 s4, s21, s22
	s_mul_i32 s5, s20, s23
	v_mov_b32_e32 v2, s22
	v_addc_co_u32_e32 v17, vcc, 0, v3, vcc
	s_add_i32 s6, s5, s4
	v_mad_u64_u32 v[2:3], s[4:5], s20, v2, v[12:13]
	v_mad_u64_u32 v[18:19], s[4:5], s20, v2, 0
	v_add_u32_e32 v3, s6, v3
	s_mul_i32 s4, s20, s21
	s_mul_hi_u32 s5, s20, s20
	v_cmp_lt_i64_e32 vcc, s[30:31], v[0:1]
	v_mul_lo_u32 v3, s20, v3
	v_mul_lo_u32 v20, s21, v2
	s_add_i32 s5, s5, s4
	v_cndmask_b32_e64 v0, 0, 1, vcc
	s_lshl_b64 s[8:9], s[20:21], 4
	v_add3_u32 v19, v19, v3, v20
	s_lshl_b64 s[28:29], s[20:21], 3
	s_add_i32 s38, s5, s4
	s_mul_i32 s39, s20, s20
	v_cmp_ne_u32_e64 s[4:5], 1, v0
	s_branch .LBB96_12
.LBB96_11:                              ;   in Loop: Header=BB96_12 Depth=1
	s_or_b64 exec, exec, s[6:7]
	v_add_co_u32_e32 v12, vcc, 8, v12
	v_addc_co_u32_e32 v13, vcc, 0, v13, vcc
	v_cmp_le_i64_e32 vcc, s[20:21], v[12:13]
	v_mov_b32_e32 v0, s29
	s_or_b64 s[12:13], vcc, s[12:13]
	v_add_co_u32_e32 v18, vcc, s28, v18
	v_addc_co_u32_e32 v19, vcc, v19, v0, vcc
	s_andn2_b64 exec, exec, s[12:13]
	s_cbranch_execz .LBB96_28
.LBB96_12:                              ; =>This Loop Header: Depth=1
                                        ;     Child Loop BB96_16 Depth 2
                                        ;       Child Loop BB96_19 Depth 3
	v_pk_mov_b32 v[0:1], 0, 0
	s_and_b64 vcc, exec, s[4:5]
	v_pk_mov_b32 v[2:3], v[0:1], v[0:1] op_sel:[0,1]
	s_cbranch_vccnz .LBB96_23
; %bb.13:                               ;   in Loop: Header=BB96_12 Depth=1
	v_pk_mov_b32 v[0:1], 0, 0
	v_pk_mov_b32 v[20:21], v[18:19], v[18:19] op_sel:[0,1]
	s_mov_b64 s[30:31], s[22:23]
	v_pk_mov_b32 v[2:3], v[0:1], v[0:1] op_sel:[0,1]
	s_branch .LBB96_16
.LBB96_14:                              ;   in Loop: Header=BB96_16 Depth=2
	s_or_b64 exec, exec, s[36:37]
.LBB96_15:                              ;   in Loop: Header=BB96_16 Depth=2
	s_or_b64 exec, exec, s[34:35]
	s_add_u32 s30, s30, 1
	v_mov_b32_e32 v22, s38
	v_add_co_u32_e32 v20, vcc, s39, v20
	s_addc_u32 s31, s31, 0
	v_addc_co_u32_e32 v21, vcc, v21, v22, vcc
	v_pk_mov_b32 v[22:23], s[14:15], s[14:15] op_sel:[0,1]
	v_cmp_ge_i64_e32 vcc, s[30:31], v[22:23]
	s_cbranch_vccnz .LBB96_23
.LBB96_16:                              ;   Parent Loop BB96_12 Depth=1
                                        ; =>  This Loop Header: Depth=2
                                        ;       Child Loop BB96_19 Depth 3
	s_and_saveexec_b64 s[34:35], s[0:1]
	s_cbranch_execz .LBB96_15
; %bb.17:                               ;   in Loop: Header=BB96_16 Depth=2
	s_lshl_b64 s[6:7], s[30:31], 3
	s_add_u32 s6, s16, s6
	s_addc_u32 s7, s17, s7
	s_load_dwordx2 s[6:7], s[6:7], 0x0
	s_mul_i32 s36, s30, s21
	s_mul_hi_u32 s37, s30, s20
	s_mul_i32 s40, s31, s20
	s_mul_i32 s41, s30, s20
	s_waitcnt lgkmcnt(0)
	s_sub_u32 s6, s6, s10
	s_subb_u32 s7, s7, 0
	s_add_i32 s36, s37, s36
	s_add_i32 s40, s36, s40
	s_mul_i32 s36, s9, s6
	s_mul_i32 s7, s8, s7
	v_mov_b32_e32 v22, s6
	s_add_i32 s36, s7, s36
	v_mad_u64_u32 v[22:23], s[6:7], s8, v22, v[16:17]
	v_add_u32_e32 v23, s36, v23
	s_mov_b64 s[36:37], 0
	v_pk_mov_b32 v[24:25], v[14:15], v[14:15] op_sel:[0,1]
	s_branch .LBB96_19
.LBB96_18:                              ;   in Loop: Header=BB96_19 Depth=3
	v_lshlrev_b64 v[26:27], 3, v[26:27]
	v_mov_b32_e32 v28, s19
	v_add_co_u32_e32 v30, vcc, s18, v26
	v_addc_co_u32_e32 v31, vcc, v28, v27, vcc
	global_load_dwordx4 v[26:29], v[22:23], off offset:-8
	global_load_dwordx2 v[32:33], v[30:31], off
	v_add_co_u32_e32 v24, vcc, 8, v24
	v_addc_co_u32_e32 v25, vcc, 0, v25, vcc
	v_add_co_u32_e32 v22, vcc, 0x80, v22
	v_cmp_le_i64_e64 s[6:7], s[20:21], v[24:25]
	s_or_b64 s[36:37], s[6:7], s[36:37]
	v_addc_co_u32_e32 v23, vcc, 0, v23, vcc
	s_waitcnt vmcnt(1)
	v_fmac_f64_e32 v[0:1], 0, v[26:27]
	s_waitcnt vmcnt(0)
	v_fmac_f64_e32 v[2:3], v[32:33], v[26:27]
	v_fmac_f64_e32 v[0:1], v[32:33], v[28:29]
	;; [unrolled: 1-line block ×3, first 2 shown]
	s_andn2_b64 exec, exec, s[36:37]
	s_cbranch_execz .LBB96_14
.LBB96_19:                              ;   Parent Loop BB96_12 Depth=1
                                        ;     Parent Loop BB96_16 Depth=2
                                        ; =>    This Inner Loop Header: Depth=3
	s_and_b64 vcc, exec, s[24:25]
	s_cbranch_vccz .LBB96_21
; %bb.20:                               ;   in Loop: Header=BB96_19 Depth=3
	v_mov_b32_e32 v26, s40
	v_add_co_u32_e32 v27, vcc, s41, v24
	v_addc_co_u32_e32 v26, vcc, v25, v26, vcc
	v_mul_lo_u32 v28, v27, s21
	v_mul_lo_u32 v29, v26, s20
	v_mad_u64_u32 v[26:27], s[6:7], v27, s20, v[12:13]
	v_add3_u32 v27, v29, v27, v28
	s_cbranch_execnz .LBB96_18
	s_branch .LBB96_22
.LBB96_21:                              ;   in Loop: Header=BB96_19 Depth=3
                                        ; implicit-def: $vgpr26_vgpr27
.LBB96_22:                              ;   in Loop: Header=BB96_19 Depth=3
	v_add_co_u32_e32 v26, vcc, v20, v24
	v_addc_co_u32_e32 v27, vcc, v21, v25, vcc
	s_branch .LBB96_18
.LBB96_23:                              ;   in Loop: Header=BB96_12 Depth=1
	s_nop 0
	v_mov_b32_dpp v20, v2 row_shr:1 row_mask:0xf bank_mask:0xf
	v_mov_b32_dpp v21, v3 row_shr:1 row_mask:0xf bank_mask:0xf
	;; [unrolled: 1-line block ×4, first 2 shown]
	v_add_f64 v[2:3], v[2:3], v[20:21]
	v_add_f64 v[0:1], v[0:1], v[22:23]
	s_nop 0
	v_mov_b32_dpp v20, v2 row_shr:2 row_mask:0xf bank_mask:0xf
	v_mov_b32_dpp v21, v3 row_shr:2 row_mask:0xf bank_mask:0xf
	;; [unrolled: 1-line block ×4, first 2 shown]
	v_add_f64 v[2:3], v[2:3], v[20:21]
	v_add_f64 v[0:1], v[0:1], v[22:23]
	s_nop 0
	v_mov_b32_dpp v20, v2 row_shr:4 row_mask:0xf bank_mask:0xe
	v_mov_b32_dpp v21, v3 row_shr:4 row_mask:0xf bank_mask:0xe
	;; [unrolled: 1-line block ×4, first 2 shown]
	s_and_saveexec_b64 s[6:7], s[2:3]
	s_cbranch_execz .LBB96_11
; %bb.24:                               ;   in Loop: Header=BB96_12 Depth=1
	v_add_f64 v[24:25], v[2:3], v[20:21]
	v_add_f64 v[2:3], v[0:1], v[22:23]
	v_mul_f64 v[0:1], v[2:3], -v[6:7]
	v_mul_f64 v[2:3], v[4:5], v[2:3]
	v_lshlrev_b64 v[20:21], 4, v[12:13]
	v_fmac_f64_e32 v[0:1], v[4:5], v[24:25]
	v_fmac_f64_e32 v[2:3], v[6:7], v[24:25]
	s_and_saveexec_b64 s[30:31], s[26:27]
	s_xor_b64 s[30:31], exec, s[30:31]
	s_cbranch_execz .LBB96_26
; %bb.25:                               ;   in Loop: Header=BB96_12 Depth=1
	v_mov_b32_e32 v22, s33
	v_add_co_u32_e32 v20, vcc, s11, v20
	v_addc_co_u32_e32 v21, vcc, v22, v21, vcc
	global_store_dwordx4 v[20:21], v[0:3], off
                                        ; implicit-def: $vgpr20_vgpr21
                                        ; implicit-def: $vgpr0_vgpr1
.LBB96_26:                              ;   in Loop: Header=BB96_12 Depth=1
	s_andn2_saveexec_b64 s[30:31], s[30:31]
	s_cbranch_execz .LBB96_11
; %bb.27:                               ;   in Loop: Header=BB96_12 Depth=1
	v_mov_b32_e32 v22, s33
	v_add_co_u32_e32 v24, vcc, s11, v20
	v_addc_co_u32_e32 v25, vcc, v22, v21, vcc
	global_load_dwordx4 v[20:23], v[24:25], off
	s_waitcnt vmcnt(0)
	v_fmac_f64_e32 v[0:1], v[8:9], v[20:21]
	v_fmac_f64_e32 v[2:3], v[10:11], v[20:21]
	v_fma_f64 v[0:1], -v[10:11], v[22:23], v[0:1]
	v_fmac_f64_e32 v[2:3], v[8:9], v[22:23]
	global_store_dwordx4 v[24:25], v[0:3], off
	s_branch .LBB96_11
.LBB96_28:
	s_endpgm
	.section	.rodata,"a",@progbits
	.p2align	6, 0x0
	.amdhsa_kernel _ZN9rocsparseL22bsrxmvn_general_kernelILj64ELj8E21rocsparse_complex_numIdElldS2_S2_EEv20rocsparse_direction_NS_24const_host_device_scalarIT1_EET3_PKS7_PKT2_SC_S9_PKT4_S7_PKT5_S6_PT6_21rocsparse_index_base_b
		.amdhsa_group_segment_fixed_size 1024
		.amdhsa_private_segment_fixed_size 0
		.amdhsa_kernarg_size 120
		.amdhsa_user_sgpr_count 8
		.amdhsa_user_sgpr_private_segment_buffer 1
		.amdhsa_user_sgpr_dispatch_ptr 1
		.amdhsa_user_sgpr_queue_ptr 0
		.amdhsa_user_sgpr_kernarg_segment_ptr 1
		.amdhsa_user_sgpr_dispatch_id 0
		.amdhsa_user_sgpr_flat_scratch_init 0
		.amdhsa_user_sgpr_kernarg_preload_length 0
		.amdhsa_user_sgpr_kernarg_preload_offset 0
		.amdhsa_user_sgpr_private_segment_size 0
		.amdhsa_uses_dynamic_stack 0
		.amdhsa_system_sgpr_private_segment_wavefront_offset 0
		.amdhsa_system_sgpr_workgroup_id_x 1
		.amdhsa_system_sgpr_workgroup_id_y 0
		.amdhsa_system_sgpr_workgroup_id_z 0
		.amdhsa_system_sgpr_workgroup_info 0
		.amdhsa_system_vgpr_workitem_id 2
		.amdhsa_next_free_vgpr 34
		.amdhsa_next_free_sgpr 42
		.amdhsa_accum_offset 36
		.amdhsa_reserve_vcc 1
		.amdhsa_reserve_flat_scratch 0
		.amdhsa_float_round_mode_32 0
		.amdhsa_float_round_mode_16_64 0
		.amdhsa_float_denorm_mode_32 3
		.amdhsa_float_denorm_mode_16_64 3
		.amdhsa_dx10_clamp 1
		.amdhsa_ieee_mode 1
		.amdhsa_fp16_overflow 0
		.amdhsa_tg_split 0
		.amdhsa_exception_fp_ieee_invalid_op 0
		.amdhsa_exception_fp_denorm_src 0
		.amdhsa_exception_fp_ieee_div_zero 0
		.amdhsa_exception_fp_ieee_overflow 0
		.amdhsa_exception_fp_ieee_underflow 0
		.amdhsa_exception_fp_ieee_inexact 0
		.amdhsa_exception_int_div_zero 0
	.end_amdhsa_kernel
	.section	.text._ZN9rocsparseL22bsrxmvn_general_kernelILj64ELj8E21rocsparse_complex_numIdElldS2_S2_EEv20rocsparse_direction_NS_24const_host_device_scalarIT1_EET3_PKS7_PKT2_SC_S9_PKT4_S7_PKT5_S6_PT6_21rocsparse_index_base_b,"axG",@progbits,_ZN9rocsparseL22bsrxmvn_general_kernelILj64ELj8E21rocsparse_complex_numIdElldS2_S2_EEv20rocsparse_direction_NS_24const_host_device_scalarIT1_EET3_PKS7_PKT2_SC_S9_PKT4_S7_PKT5_S6_PT6_21rocsparse_index_base_b,comdat
.Lfunc_end96:
	.size	_ZN9rocsparseL22bsrxmvn_general_kernelILj64ELj8E21rocsparse_complex_numIdElldS2_S2_EEv20rocsparse_direction_NS_24const_host_device_scalarIT1_EET3_PKS7_PKT2_SC_S9_PKT4_S7_PKT5_S6_PT6_21rocsparse_index_base_b, .Lfunc_end96-_ZN9rocsparseL22bsrxmvn_general_kernelILj64ELj8E21rocsparse_complex_numIdElldS2_S2_EEv20rocsparse_direction_NS_24const_host_device_scalarIT1_EET3_PKS7_PKT2_SC_S9_PKT4_S7_PKT5_S6_PT6_21rocsparse_index_base_b
                                        ; -- End function
	.section	.AMDGPU.csdata,"",@progbits
; Kernel info:
; codeLenInByte = 1476
; NumSgprs: 46
; NumVgprs: 34
; NumAgprs: 0
; TotalNumVgprs: 34
; ScratchSize: 0
; MemoryBound: 0
; FloatMode: 240
; IeeeMode: 1
; LDSByteSize: 1024 bytes/workgroup (compile time only)
; SGPRBlocks: 5
; VGPRBlocks: 4
; NumSGPRsForWavesPerEU: 46
; NumVGPRsForWavesPerEU: 34
; AccumOffset: 36
; Occupancy: 8
; WaveLimiterHint : 1
; COMPUTE_PGM_RSRC2:SCRATCH_EN: 0
; COMPUTE_PGM_RSRC2:USER_SGPR: 8
; COMPUTE_PGM_RSRC2:TRAP_HANDLER: 0
; COMPUTE_PGM_RSRC2:TGID_X_EN: 1
; COMPUTE_PGM_RSRC2:TGID_Y_EN: 0
; COMPUTE_PGM_RSRC2:TGID_Z_EN: 0
; COMPUTE_PGM_RSRC2:TIDIG_COMP_CNT: 2
; COMPUTE_PGM_RSRC3_GFX90A:ACCUM_OFFSET: 8
; COMPUTE_PGM_RSRC3_GFX90A:TG_SPLIT: 0
	.section	.text._ZN9rocsparseL22bsrxmvn_general_kernelILj256ELj16E21rocsparse_complex_numIdElldS2_S2_EEv20rocsparse_direction_NS_24const_host_device_scalarIT1_EET3_PKS7_PKT2_SC_S9_PKT4_S7_PKT5_S6_PT6_21rocsparse_index_base_b,"axG",@progbits,_ZN9rocsparseL22bsrxmvn_general_kernelILj256ELj16E21rocsparse_complex_numIdElldS2_S2_EEv20rocsparse_direction_NS_24const_host_device_scalarIT1_EET3_PKS7_PKT2_SC_S9_PKT4_S7_PKT5_S6_PT6_21rocsparse_index_base_b,comdat
	.globl	_ZN9rocsparseL22bsrxmvn_general_kernelILj256ELj16E21rocsparse_complex_numIdElldS2_S2_EEv20rocsparse_direction_NS_24const_host_device_scalarIT1_EET3_PKS7_PKT2_SC_S9_PKT4_S7_PKT5_S6_PT6_21rocsparse_index_base_b ; -- Begin function _ZN9rocsparseL22bsrxmvn_general_kernelILj256ELj16E21rocsparse_complex_numIdElldS2_S2_EEv20rocsparse_direction_NS_24const_host_device_scalarIT1_EET3_PKS7_PKT2_SC_S9_PKT4_S7_PKT5_S6_PT6_21rocsparse_index_base_b
	.p2align	8
	.type	_ZN9rocsparseL22bsrxmvn_general_kernelILj256ELj16E21rocsparse_complex_numIdElldS2_S2_EEv20rocsparse_direction_NS_24const_host_device_scalarIT1_EET3_PKS7_PKT2_SC_S9_PKT4_S7_PKT5_S6_PT6_21rocsparse_index_base_b,@function
_ZN9rocsparseL22bsrxmvn_general_kernelILj256ELj16E21rocsparse_complex_numIdElldS2_S2_EEv20rocsparse_direction_NS_24const_host_device_scalarIT1_EET3_PKS7_PKT2_SC_S9_PKT4_S7_PKT5_S6_PT6_21rocsparse_index_base_b: ; @_ZN9rocsparseL22bsrxmvn_general_kernelILj256ELj16E21rocsparse_complex_numIdElldS2_S2_EEv20rocsparse_direction_NS_24const_host_device_scalarIT1_EET3_PKS7_PKT2_SC_S9_PKT4_S7_PKT5_S6_PT6_21rocsparse_index_base_b
; %bb.0:
	s_load_dwordx2 s[10:11], s[6:7], 0x70
	s_load_dwordx4 s[12:15], s[6:7], 0x8
	s_load_dwordx2 s[20:21], s[4:5], 0x4
	s_load_dwordx4 s[16:19], s[6:7], 0x58
	s_mov_b64 s[2:3], src_shared_base
	v_and_b32_e32 v1, 0x3ff, v0
	s_waitcnt lgkmcnt(0)
	s_bitcmp1_b32 s11, 0
	s_cselect_b64 s[0:1], -1, 0
	s_and_b64 vcc, s[0:1], exec
	s_cselect_b32 s2, s3, s13
	s_lshr_b32 s4, s20, 16
	s_mul_i32 s4, s4, s21
	v_mul_lo_u32 v2, s4, v1
	v_bfe_u32 v3, v0, 10, 10
	v_mad_u32_u24 v2, v3, s21, v2
	v_bfe_u32 v0, v0, 20, 10
	v_add_lshl_u32 v0, v2, v0, 3
	v_mov_b32_e32 v6, s12
	v_add_u32_e32 v7, 0x800, v0
	v_pk_mov_b32 v[2:3], s[12:13], s[12:13] op_sel:[0,1]
	v_pk_mov_b32 v[4:5], s[16:17], s[16:17] op_sel:[0,1]
	ds_write2st64_b64 v0, v[4:5], v[2:3] offset1:4
	v_cndmask_b32_e64 v2, v6, v7, s[0:1]
	v_mov_b32_e32 v3, s2
	flat_load_dwordx2 v[4:5], v[2:3]
	s_xor_b64 s[4:5], s[0:1], -1
	v_pk_mov_b32 v[6:7], s[14:15], s[14:15] op_sel:[0,1]
	s_cbranch_vccnz .LBB97_2
; %bb.1:
	v_pk_mov_b32 v[2:3], s[12:13], s[12:13] op_sel:[0,1]
	flat_load_dwordx2 v[6:7], v[2:3] offset:8
.LBB97_2:
	s_and_b64 s[12:13], s[0:1], exec
	s_cselect_b32 s2, s3, s17
	v_mov_b32_e32 v2, s16
	v_cndmask_b32_e64 v2, v2, v0, s[0:1]
	v_mov_b32_e32 v3, s2
	flat_load_dwordx2 v[8:9], v[2:3]
	s_andn2_b64 vcc, exec, s[4:5]
	v_pk_mov_b32 v[10:11], s[18:19], s[18:19] op_sel:[0,1]
	s_cbranch_vccnz .LBB97_4
; %bb.3:
	v_pk_mov_b32 v[2:3], s[16:17], s[16:17] op_sel:[0,1]
	flat_load_dwordx2 v[10:11], v[2:3] offset:8
.LBB97_4:
	s_waitcnt vmcnt(0) lgkmcnt(0)
	v_cmp_eq_f64_e32 vcc, 0, v[4:5]
	v_cmp_eq_f64_e64 s[0:1], 0, v[6:7]
	s_and_b64 s[4:5], vcc, s[0:1]
	s_mov_b64 s[0:1], -1
	s_and_saveexec_b64 s[2:3], s[4:5]
; %bb.5:
	v_cmp_neq_f64_e32 vcc, 1.0, v[8:9]
	v_cmp_neq_f64_e64 s[0:1], 0, v[10:11]
	s_or_b64 s[0:1], vcc, s[0:1]
	s_orn2_b64 s[0:1], s[0:1], exec
; %bb.6:
	s_or_b64 exec, exec, s[2:3]
	s_and_saveexec_b64 s[2:3], s[0:1]
	s_cbranch_execz .LBB97_28
; %bb.7:
	s_load_dwordx2 s[0:1], s[6:7], 0x20
	s_mov_b32 s9, 0
	s_waitcnt lgkmcnt(0)
	s_cmp_eq_u64 s[0:1], 0
	s_cbranch_scc1 .LBB97_9
; %bb.8:
	s_lshl_b64 s[2:3], s[8:9], 3
	s_add_u32 s0, s0, s2
	s_addc_u32 s1, s1, s3
	s_load_dwordx2 s[0:1], s[0:1], 0x0
	s_waitcnt lgkmcnt(0)
	s_sub_u32 s8, s0, s10
	s_subb_u32 s9, s1, 0
.LBB97_9:
	s_load_dwordx2 s[20:21], s[6:7], 0x48
	v_lshrrev_b32_e32 v12, 4, v1
	v_mov_b32_e32 v13, 0
	s_waitcnt lgkmcnt(0)
	v_cmp_gt_i64_e32 vcc, s[20:21], v[12:13]
	s_and_b64 exec, exec, vcc
	s_cbranch_execz .LBB97_28
; %bb.10:
	s_load_dwordx8 s[12:19], s[6:7], 0x28
	s_lshl_b64 s[0:1], s[8:9], 3
	v_and_b32_e32 v14, 15, v1
	v_cmp_eq_f64_e32 vcc, 0, v[8:9]
	v_lshlrev_b32_e32 v2, 4, v14
	s_waitcnt lgkmcnt(0)
	s_add_u32 s2, s12, s0
	s_addc_u32 s3, s13, s1
	s_load_dwordx2 s[28:29], s[2:3], 0x0
	s_load_dwordx2 s[30:31], s[6:7], 0x68
	;; [unrolled: 1-line block ×3, first 2 shown]
	v_mov_b32_e32 v15, v13
	s_mov_b64 s[12:13], 0
	s_waitcnt lgkmcnt(0)
	s_sub_u32 s22, s28, s10
	s_subb_u32 s23, s29, 0
	s_add_u32 s2, s2, 8
	s_addc_u32 s3, s3, 0
	s_add_u32 s0, s14, s0
	s_addc_u32 s1, s15, s1
	s_cmp_eq_u64 s[14:15], 0
	s_cselect_b32 s1, s3, s1
	s_cselect_b32 s0, s2, s0
	s_load_dwordx2 s[4:5], s[0:1], 0x0
	s_load_dword s11, s[6:7], 0x0
	v_mov_b32_e32 v3, s35
	v_cmp_gt_u64_e64 s[0:1], s[20:21], v[14:15]
	v_cmp_eq_u32_e64 s[2:3], 15, v14
	s_waitcnt lgkmcnt(0)
	s_sub_u32 s14, s4, s10
	s_subb_u32 s15, s5, 0
	v_pk_mov_b32 v[0:1], s[4:5], s[4:5] op_sel:[0,1]
	s_cmp_lg_u32 s11, 0
	v_cmp_eq_f64_e64 s[4:5], 0, v[10:11]
	s_cselect_b64 s[24:25], -1, 0
	s_and_b64 s[26:27], vcc, s[4:5]
	s_mul_i32 s4, s8, s21
	s_mul_hi_u32 s5, s8, s20
	s_add_i32 s4, s5, s4
	s_mul_i32 s5, s9, s20
	s_add_i32 s5, s4, s5
	s_mul_i32 s4, s8, s20
	s_lshl_b64 s[4:5], s[4:5], 4
	v_add_co_u32_e32 v2, vcc, s34, v2
	s_add_u32 s11, s30, s4
	v_addc_co_u32_e32 v3, vcc, 0, v3, vcc
	s_addc_u32 s33, s31, s5
	v_add_co_u32_e32 v16, vcc, 8, v2
	s_mul_i32 s4, s21, s22
	s_mul_i32 s5, s20, s23
	v_mov_b32_e32 v2, s22
	v_addc_co_u32_e32 v17, vcc, 0, v3, vcc
	s_add_i32 s6, s5, s4
	v_mad_u64_u32 v[2:3], s[4:5], s20, v2, v[12:13]
	v_mad_u64_u32 v[18:19], s[4:5], s20, v2, 0
	v_add_u32_e32 v3, s6, v3
	s_mul_i32 s4, s20, s21
	s_mul_hi_u32 s5, s20, s20
	v_cmp_lt_i64_e32 vcc, s[28:29], v[0:1]
	v_mul_lo_u32 v3, s20, v3
	v_mul_lo_u32 v20, s21, v2
	s_add_i32 s5, s5, s4
	v_cndmask_b32_e64 v0, 0, 1, vcc
	s_lshl_b64 s[8:9], s[20:21], 4
	v_add3_u32 v19, v19, v3, v20
	s_add_i32 s36, s5, s4
	s_mul_i32 s37, s20, s20
	v_cmp_ne_u32_e64 s[4:5], 1, v0
	s_branch .LBB97_12
.LBB97_11:                              ;   in Loop: Header=BB97_12 Depth=1
	s_or_b64 exec, exec, s[6:7]
	v_add_co_u32_e32 v12, vcc, 16, v12
	v_addc_co_u32_e32 v13, vcc, 0, v13, vcc
	v_cmp_le_i64_e32 vcc, s[20:21], v[12:13]
	v_mov_b32_e32 v0, s9
	s_or_b64 s[12:13], vcc, s[12:13]
	v_add_co_u32_e32 v18, vcc, s8, v18
	v_addc_co_u32_e32 v19, vcc, v19, v0, vcc
	s_andn2_b64 exec, exec, s[12:13]
	s_cbranch_execz .LBB97_28
.LBB97_12:                              ; =>This Loop Header: Depth=1
                                        ;     Child Loop BB97_16 Depth 2
                                        ;       Child Loop BB97_19 Depth 3
	v_pk_mov_b32 v[0:1], 0, 0
	s_and_b64 vcc, exec, s[4:5]
	v_pk_mov_b32 v[2:3], v[0:1], v[0:1] op_sel:[0,1]
	s_cbranch_vccnz .LBB97_23
; %bb.13:                               ;   in Loop: Header=BB97_12 Depth=1
	v_pk_mov_b32 v[0:1], 0, 0
	v_pk_mov_b32 v[20:21], v[18:19], v[18:19] op_sel:[0,1]
	s_mov_b64 s[28:29], s[22:23]
	v_pk_mov_b32 v[2:3], v[0:1], v[0:1] op_sel:[0,1]
	s_branch .LBB97_16
.LBB97_14:                              ;   in Loop: Header=BB97_16 Depth=2
	s_or_b64 exec, exec, s[34:35]
.LBB97_15:                              ;   in Loop: Header=BB97_16 Depth=2
	s_or_b64 exec, exec, s[30:31]
	s_add_u32 s28, s28, 1
	v_mov_b32_e32 v22, s36
	v_add_co_u32_e32 v20, vcc, s37, v20
	s_addc_u32 s29, s29, 0
	v_addc_co_u32_e32 v21, vcc, v21, v22, vcc
	v_pk_mov_b32 v[22:23], s[14:15], s[14:15] op_sel:[0,1]
	v_cmp_ge_i64_e32 vcc, s[28:29], v[22:23]
	s_cbranch_vccnz .LBB97_23
.LBB97_16:                              ;   Parent Loop BB97_12 Depth=1
                                        ; =>  This Loop Header: Depth=2
                                        ;       Child Loop BB97_19 Depth 3
	s_and_saveexec_b64 s[30:31], s[0:1]
	s_cbranch_execz .LBB97_15
; %bb.17:                               ;   in Loop: Header=BB97_16 Depth=2
	s_lshl_b64 s[6:7], s[28:29], 3
	s_add_u32 s6, s16, s6
	s_addc_u32 s7, s17, s7
	s_load_dwordx2 s[6:7], s[6:7], 0x0
	s_mul_i32 s34, s28, s21
	s_mul_hi_u32 s35, s28, s20
	s_mul_i32 s38, s29, s20
	s_mul_i32 s39, s28, s20
	s_waitcnt lgkmcnt(0)
	s_sub_u32 s6, s6, s10
	s_subb_u32 s7, s7, 0
	s_add_i32 s34, s35, s34
	s_add_i32 s38, s34, s38
	s_mul_i32 s34, s9, s6
	s_mul_i32 s7, s8, s7
	v_mov_b32_e32 v22, s6
	s_add_i32 s34, s7, s34
	v_mad_u64_u32 v[22:23], s[6:7], s8, v22, v[16:17]
	v_add_u32_e32 v23, s34, v23
	s_mov_b64 s[34:35], 0
	v_pk_mov_b32 v[24:25], v[14:15], v[14:15] op_sel:[0,1]
	s_branch .LBB97_19
.LBB97_18:                              ;   in Loop: Header=BB97_19 Depth=3
	v_lshlrev_b64 v[26:27], 3, v[26:27]
	v_mov_b32_e32 v28, s19
	v_add_co_u32_e32 v30, vcc, s18, v26
	v_addc_co_u32_e32 v31, vcc, v28, v27, vcc
	global_load_dwordx4 v[26:29], v[22:23], off offset:-8
	global_load_dwordx2 v[32:33], v[30:31], off
	v_add_co_u32_e32 v24, vcc, 16, v24
	v_addc_co_u32_e32 v25, vcc, 0, v25, vcc
	v_add_co_u32_e32 v22, vcc, 0x100, v22
	v_cmp_le_i64_e64 s[6:7], s[20:21], v[24:25]
	s_or_b64 s[34:35], s[6:7], s[34:35]
	v_addc_co_u32_e32 v23, vcc, 0, v23, vcc
	s_waitcnt vmcnt(1)
	v_fmac_f64_e32 v[0:1], 0, v[26:27]
	s_waitcnt vmcnt(0)
	v_fmac_f64_e32 v[2:3], v[32:33], v[26:27]
	v_fmac_f64_e32 v[0:1], v[32:33], v[28:29]
	;; [unrolled: 1-line block ×3, first 2 shown]
	s_andn2_b64 exec, exec, s[34:35]
	s_cbranch_execz .LBB97_14
.LBB97_19:                              ;   Parent Loop BB97_12 Depth=1
                                        ;     Parent Loop BB97_16 Depth=2
                                        ; =>    This Inner Loop Header: Depth=3
	s_and_b64 vcc, exec, s[24:25]
	s_cbranch_vccz .LBB97_21
; %bb.20:                               ;   in Loop: Header=BB97_19 Depth=3
	v_mov_b32_e32 v26, s38
	v_add_co_u32_e32 v27, vcc, s39, v24
	v_addc_co_u32_e32 v26, vcc, v25, v26, vcc
	v_mul_lo_u32 v28, v27, s21
	v_mul_lo_u32 v29, v26, s20
	v_mad_u64_u32 v[26:27], s[6:7], v27, s20, v[12:13]
	v_add3_u32 v27, v29, v27, v28
	s_cbranch_execnz .LBB97_18
	s_branch .LBB97_22
.LBB97_21:                              ;   in Loop: Header=BB97_19 Depth=3
                                        ; implicit-def: $vgpr26_vgpr27
.LBB97_22:                              ;   in Loop: Header=BB97_19 Depth=3
	v_add_co_u32_e32 v26, vcc, v20, v24
	v_addc_co_u32_e32 v27, vcc, v21, v25, vcc
	s_branch .LBB97_18
.LBB97_23:                              ;   in Loop: Header=BB97_12 Depth=1
	s_nop 0
	v_mov_b32_dpp v20, v2 row_shr:1 row_mask:0xf bank_mask:0xf
	v_mov_b32_dpp v21, v3 row_shr:1 row_mask:0xf bank_mask:0xf
	v_mov_b32_dpp v22, v0 row_shr:1 row_mask:0xf bank_mask:0xf
	v_mov_b32_dpp v23, v1 row_shr:1 row_mask:0xf bank_mask:0xf
	v_add_f64 v[2:3], v[2:3], v[20:21]
	v_add_f64 v[0:1], v[0:1], v[22:23]
	s_nop 0
	v_mov_b32_dpp v20, v2 row_shr:2 row_mask:0xf bank_mask:0xf
	v_mov_b32_dpp v21, v3 row_shr:2 row_mask:0xf bank_mask:0xf
	v_mov_b32_dpp v22, v0 row_shr:2 row_mask:0xf bank_mask:0xf
	v_mov_b32_dpp v23, v1 row_shr:2 row_mask:0xf bank_mask:0xf
	v_add_f64 v[2:3], v[2:3], v[20:21]
	v_add_f64 v[0:1], v[0:1], v[22:23]
	;; [unrolled: 7-line block ×3, first 2 shown]
	s_nop 0
	v_mov_b32_dpp v20, v2 row_shr:8 row_mask:0xf bank_mask:0xc
	v_mov_b32_dpp v21, v3 row_shr:8 row_mask:0xf bank_mask:0xc
	;; [unrolled: 1-line block ×4, first 2 shown]
	s_and_saveexec_b64 s[6:7], s[2:3]
	s_cbranch_execz .LBB97_11
; %bb.24:                               ;   in Loop: Header=BB97_12 Depth=1
	v_add_f64 v[24:25], v[2:3], v[20:21]
	v_add_f64 v[2:3], v[0:1], v[22:23]
	v_mul_f64 v[0:1], v[2:3], -v[6:7]
	v_mul_f64 v[2:3], v[4:5], v[2:3]
	v_lshlrev_b64 v[20:21], 4, v[12:13]
	v_fmac_f64_e32 v[0:1], v[4:5], v[24:25]
	v_fmac_f64_e32 v[2:3], v[6:7], v[24:25]
	s_and_saveexec_b64 s[28:29], s[26:27]
	s_xor_b64 s[28:29], exec, s[28:29]
	s_cbranch_execz .LBB97_26
; %bb.25:                               ;   in Loop: Header=BB97_12 Depth=1
	v_mov_b32_e32 v22, s33
	v_add_co_u32_e32 v20, vcc, s11, v20
	v_addc_co_u32_e32 v21, vcc, v22, v21, vcc
	global_store_dwordx4 v[20:21], v[0:3], off
                                        ; implicit-def: $vgpr20_vgpr21
                                        ; implicit-def: $vgpr0_vgpr1
.LBB97_26:                              ;   in Loop: Header=BB97_12 Depth=1
	s_andn2_saveexec_b64 s[28:29], s[28:29]
	s_cbranch_execz .LBB97_11
; %bb.27:                               ;   in Loop: Header=BB97_12 Depth=1
	v_mov_b32_e32 v22, s33
	v_add_co_u32_e32 v24, vcc, s11, v20
	v_addc_co_u32_e32 v25, vcc, v22, v21, vcc
	global_load_dwordx4 v[20:23], v[24:25], off
	s_waitcnt vmcnt(0)
	v_fmac_f64_e32 v[0:1], v[8:9], v[20:21]
	v_fmac_f64_e32 v[2:3], v[10:11], v[20:21]
	v_fma_f64 v[0:1], -v[10:11], v[22:23], v[0:1]
	v_fmac_f64_e32 v[2:3], v[8:9], v[22:23]
	global_store_dwordx4 v[24:25], v[0:3], off
	s_branch .LBB97_11
.LBB97_28:
	s_endpgm
	.section	.rodata,"a",@progbits
	.p2align	6, 0x0
	.amdhsa_kernel _ZN9rocsparseL22bsrxmvn_general_kernelILj256ELj16E21rocsparse_complex_numIdElldS2_S2_EEv20rocsparse_direction_NS_24const_host_device_scalarIT1_EET3_PKS7_PKT2_SC_S9_PKT4_S7_PKT5_S6_PT6_21rocsparse_index_base_b
		.amdhsa_group_segment_fixed_size 4096
		.amdhsa_private_segment_fixed_size 0
		.amdhsa_kernarg_size 120
		.amdhsa_user_sgpr_count 8
		.amdhsa_user_sgpr_private_segment_buffer 1
		.amdhsa_user_sgpr_dispatch_ptr 1
		.amdhsa_user_sgpr_queue_ptr 0
		.amdhsa_user_sgpr_kernarg_segment_ptr 1
		.amdhsa_user_sgpr_dispatch_id 0
		.amdhsa_user_sgpr_flat_scratch_init 0
		.amdhsa_user_sgpr_kernarg_preload_length 0
		.amdhsa_user_sgpr_kernarg_preload_offset 0
		.amdhsa_user_sgpr_private_segment_size 0
		.amdhsa_uses_dynamic_stack 0
		.amdhsa_system_sgpr_private_segment_wavefront_offset 0
		.amdhsa_system_sgpr_workgroup_id_x 1
		.amdhsa_system_sgpr_workgroup_id_y 0
		.amdhsa_system_sgpr_workgroup_id_z 0
		.amdhsa_system_sgpr_workgroup_info 0
		.amdhsa_system_vgpr_workitem_id 2
		.amdhsa_next_free_vgpr 34
		.amdhsa_next_free_sgpr 40
		.amdhsa_accum_offset 36
		.amdhsa_reserve_vcc 1
		.amdhsa_reserve_flat_scratch 0
		.amdhsa_float_round_mode_32 0
		.amdhsa_float_round_mode_16_64 0
		.amdhsa_float_denorm_mode_32 3
		.amdhsa_float_denorm_mode_16_64 3
		.amdhsa_dx10_clamp 1
		.amdhsa_ieee_mode 1
		.amdhsa_fp16_overflow 0
		.amdhsa_tg_split 0
		.amdhsa_exception_fp_ieee_invalid_op 0
		.amdhsa_exception_fp_denorm_src 0
		.amdhsa_exception_fp_ieee_div_zero 0
		.amdhsa_exception_fp_ieee_overflow 0
		.amdhsa_exception_fp_ieee_underflow 0
		.amdhsa_exception_fp_ieee_inexact 0
		.amdhsa_exception_int_div_zero 0
	.end_amdhsa_kernel
	.section	.text._ZN9rocsparseL22bsrxmvn_general_kernelILj256ELj16E21rocsparse_complex_numIdElldS2_S2_EEv20rocsparse_direction_NS_24const_host_device_scalarIT1_EET3_PKS7_PKT2_SC_S9_PKT4_S7_PKT5_S6_PT6_21rocsparse_index_base_b,"axG",@progbits,_ZN9rocsparseL22bsrxmvn_general_kernelILj256ELj16E21rocsparse_complex_numIdElldS2_S2_EEv20rocsparse_direction_NS_24const_host_device_scalarIT1_EET3_PKS7_PKT2_SC_S9_PKT4_S7_PKT5_S6_PT6_21rocsparse_index_base_b,comdat
.Lfunc_end97:
	.size	_ZN9rocsparseL22bsrxmvn_general_kernelILj256ELj16E21rocsparse_complex_numIdElldS2_S2_EEv20rocsparse_direction_NS_24const_host_device_scalarIT1_EET3_PKS7_PKT2_SC_S9_PKT4_S7_PKT5_S6_PT6_21rocsparse_index_base_b, .Lfunc_end97-_ZN9rocsparseL22bsrxmvn_general_kernelILj256ELj16E21rocsparse_complex_numIdElldS2_S2_EEv20rocsparse_direction_NS_24const_host_device_scalarIT1_EET3_PKS7_PKT2_SC_S9_PKT4_S7_PKT5_S6_PT6_21rocsparse_index_base_b
                                        ; -- End function
	.section	.AMDGPU.csdata,"",@progbits
; Kernel info:
; codeLenInByte = 1528
; NumSgprs: 44
; NumVgprs: 34
; NumAgprs: 0
; TotalNumVgprs: 34
; ScratchSize: 0
; MemoryBound: 0
; FloatMode: 240
; IeeeMode: 1
; LDSByteSize: 4096 bytes/workgroup (compile time only)
; SGPRBlocks: 5
; VGPRBlocks: 4
; NumSGPRsForWavesPerEU: 44
; NumVGPRsForWavesPerEU: 34
; AccumOffset: 36
; Occupancy: 8
; WaveLimiterHint : 1
; COMPUTE_PGM_RSRC2:SCRATCH_EN: 0
; COMPUTE_PGM_RSRC2:USER_SGPR: 8
; COMPUTE_PGM_RSRC2:TRAP_HANDLER: 0
; COMPUTE_PGM_RSRC2:TGID_X_EN: 1
; COMPUTE_PGM_RSRC2:TGID_Y_EN: 0
; COMPUTE_PGM_RSRC2:TGID_Z_EN: 0
; COMPUTE_PGM_RSRC2:TIDIG_COMP_CNT: 2
; COMPUTE_PGM_RSRC3_GFX90A:ACCUM_OFFSET: 8
; COMPUTE_PGM_RSRC3_GFX90A:TG_SPLIT: 0
	.section	.text._ZN9rocsparseL22bsrxmvn_general_kernelILj1024ELj32E21rocsparse_complex_numIdElldS2_S2_EEv20rocsparse_direction_NS_24const_host_device_scalarIT1_EET3_PKS7_PKT2_SC_S9_PKT4_S7_PKT5_S6_PT6_21rocsparse_index_base_b,"axG",@progbits,_ZN9rocsparseL22bsrxmvn_general_kernelILj1024ELj32E21rocsparse_complex_numIdElldS2_S2_EEv20rocsparse_direction_NS_24const_host_device_scalarIT1_EET3_PKS7_PKT2_SC_S9_PKT4_S7_PKT5_S6_PT6_21rocsparse_index_base_b,comdat
	.globl	_ZN9rocsparseL22bsrxmvn_general_kernelILj1024ELj32E21rocsparse_complex_numIdElldS2_S2_EEv20rocsparse_direction_NS_24const_host_device_scalarIT1_EET3_PKS7_PKT2_SC_S9_PKT4_S7_PKT5_S6_PT6_21rocsparse_index_base_b ; -- Begin function _ZN9rocsparseL22bsrxmvn_general_kernelILj1024ELj32E21rocsparse_complex_numIdElldS2_S2_EEv20rocsparse_direction_NS_24const_host_device_scalarIT1_EET3_PKS7_PKT2_SC_S9_PKT4_S7_PKT5_S6_PT6_21rocsparse_index_base_b
	.p2align	8
	.type	_ZN9rocsparseL22bsrxmvn_general_kernelILj1024ELj32E21rocsparse_complex_numIdElldS2_S2_EEv20rocsparse_direction_NS_24const_host_device_scalarIT1_EET3_PKS7_PKT2_SC_S9_PKT4_S7_PKT5_S6_PT6_21rocsparse_index_base_b,@function
_ZN9rocsparseL22bsrxmvn_general_kernelILj1024ELj32E21rocsparse_complex_numIdElldS2_S2_EEv20rocsparse_direction_NS_24const_host_device_scalarIT1_EET3_PKS7_PKT2_SC_S9_PKT4_S7_PKT5_S6_PT6_21rocsparse_index_base_b: ; @_ZN9rocsparseL22bsrxmvn_general_kernelILj1024ELj32E21rocsparse_complex_numIdElldS2_S2_EEv20rocsparse_direction_NS_24const_host_device_scalarIT1_EET3_PKS7_PKT2_SC_S9_PKT4_S7_PKT5_S6_PT6_21rocsparse_index_base_b
; %bb.0:
	s_load_dwordx2 s[10:11], s[6:7], 0x70
	s_load_dwordx4 s[12:15], s[6:7], 0x8
	s_load_dwordx2 s[20:21], s[4:5], 0x4
	s_load_dwordx4 s[16:19], s[6:7], 0x58
	s_mov_b64 s[2:3], src_shared_base
	v_and_b32_e32 v1, 0x3ff, v0
	s_waitcnt lgkmcnt(0)
	s_bitcmp1_b32 s11, 0
	s_cselect_b64 s[0:1], -1, 0
	s_and_b64 vcc, s[0:1], exec
	s_cselect_b32 s2, s3, s13
	s_lshr_b32 s4, s20, 16
	s_mul_i32 s4, s4, s21
	v_mul_lo_u32 v2, s4, v1
	v_bfe_u32 v3, v0, 10, 10
	v_mad_u32_u24 v2, v3, s21, v2
	v_bfe_u32 v0, v0, 20, 10
	v_add_lshl_u32 v0, v2, v0, 3
	v_mov_b32_e32 v6, s12
	v_add_u32_e32 v7, 0x2000, v0
	v_pk_mov_b32 v[2:3], s[12:13], s[12:13] op_sel:[0,1]
	v_pk_mov_b32 v[4:5], s[16:17], s[16:17] op_sel:[0,1]
	ds_write2st64_b64 v0, v[4:5], v[2:3] offset1:16
	v_cndmask_b32_e64 v2, v6, v7, s[0:1]
	v_mov_b32_e32 v3, s2
	flat_load_dwordx2 v[4:5], v[2:3]
	s_xor_b64 s[4:5], s[0:1], -1
	v_pk_mov_b32 v[6:7], s[14:15], s[14:15] op_sel:[0,1]
	s_cbranch_vccnz .LBB98_2
; %bb.1:
	v_pk_mov_b32 v[2:3], s[12:13], s[12:13] op_sel:[0,1]
	flat_load_dwordx2 v[6:7], v[2:3] offset:8
.LBB98_2:
	s_and_b64 s[12:13], s[0:1], exec
	s_cselect_b32 s2, s3, s17
	v_mov_b32_e32 v2, s16
	v_cndmask_b32_e64 v2, v2, v0, s[0:1]
	v_mov_b32_e32 v3, s2
	flat_load_dwordx2 v[8:9], v[2:3]
	s_andn2_b64 vcc, exec, s[4:5]
	v_pk_mov_b32 v[10:11], s[18:19], s[18:19] op_sel:[0,1]
	s_cbranch_vccnz .LBB98_4
; %bb.3:
	v_pk_mov_b32 v[2:3], s[16:17], s[16:17] op_sel:[0,1]
	flat_load_dwordx2 v[10:11], v[2:3] offset:8
.LBB98_4:
	s_waitcnt vmcnt(0) lgkmcnt(0)
	v_cmp_eq_f64_e32 vcc, 0, v[4:5]
	v_cmp_eq_f64_e64 s[0:1], 0, v[6:7]
	s_and_b64 s[4:5], vcc, s[0:1]
	s_mov_b64 s[0:1], -1
	s_and_saveexec_b64 s[2:3], s[4:5]
; %bb.5:
	v_cmp_neq_f64_e32 vcc, 1.0, v[8:9]
	v_cmp_neq_f64_e64 s[0:1], 0, v[10:11]
	s_or_b64 s[0:1], vcc, s[0:1]
	s_orn2_b64 s[0:1], s[0:1], exec
; %bb.6:
	s_or_b64 exec, exec, s[2:3]
	s_and_saveexec_b64 s[2:3], s[0:1]
	s_cbranch_execz .LBB98_28
; %bb.7:
	s_load_dwordx2 s[0:1], s[6:7], 0x20
	s_mov_b32 s9, 0
	s_waitcnt lgkmcnt(0)
	s_cmp_eq_u64 s[0:1], 0
	s_cbranch_scc1 .LBB98_9
; %bb.8:
	s_lshl_b64 s[2:3], s[8:9], 3
	s_add_u32 s0, s0, s2
	s_addc_u32 s1, s1, s3
	s_load_dwordx2 s[0:1], s[0:1], 0x0
	s_waitcnt lgkmcnt(0)
	s_sub_u32 s8, s0, s10
	s_subb_u32 s9, s1, 0
.LBB98_9:
	s_load_dwordx2 s[20:21], s[6:7], 0x48
	v_lshrrev_b32_e32 v12, 5, v1
	v_mov_b32_e32 v13, 0
	s_waitcnt lgkmcnt(0)
	v_cmp_gt_i64_e32 vcc, s[20:21], v[12:13]
	s_and_b64 exec, exec, vcc
	s_cbranch_execz .LBB98_28
; %bb.10:
	s_load_dwordx8 s[12:19], s[6:7], 0x28
	s_lshl_b64 s[0:1], s[8:9], 3
	v_and_b32_e32 v14, 31, v1
	v_cmp_eq_f64_e32 vcc, 0, v[8:9]
	v_lshlrev_b32_e32 v2, 4, v14
	s_waitcnt lgkmcnt(0)
	s_add_u32 s2, s12, s0
	s_addc_u32 s3, s13, s1
	s_load_dwordx2 s[30:31], s[2:3], 0x0
	s_load_dwordx2 s[28:29], s[6:7], 0x68
	;; [unrolled: 1-line block ×3, first 2 shown]
	v_mov_b32_e32 v15, v13
	s_mov_b64 s[12:13], 0
	s_waitcnt lgkmcnt(0)
	s_sub_u32 s22, s30, s10
	s_subb_u32 s23, s31, 0
	s_add_u32 s2, s2, 8
	s_addc_u32 s3, s3, 0
	s_add_u32 s0, s14, s0
	s_addc_u32 s1, s15, s1
	s_cmp_eq_u64 s[14:15], 0
	s_cselect_b32 s1, s3, s1
	s_cselect_b32 s0, s2, s0
	s_load_dwordx2 s[4:5], s[0:1], 0x0
	s_load_dword s11, s[6:7], 0x0
	v_mov_b32_e32 v3, s35
	v_cmp_gt_u64_e64 s[0:1], s[20:21], v[14:15]
	v_cmp_eq_u32_e64 s[2:3], 31, v14
	s_waitcnt lgkmcnt(0)
	s_sub_u32 s14, s4, s10
	s_subb_u32 s15, s5, 0
	v_pk_mov_b32 v[0:1], s[4:5], s[4:5] op_sel:[0,1]
	s_cmp_lg_u32 s11, 0
	v_cmp_eq_f64_e64 s[4:5], 0, v[10:11]
	s_cselect_b64 s[24:25], -1, 0
	s_and_b64 s[26:27], vcc, s[4:5]
	s_mul_i32 s4, s8, s21
	s_mul_hi_u32 s5, s8, s20
	s_add_i32 s4, s5, s4
	s_mul_i32 s5, s9, s20
	s_add_i32 s5, s4, s5
	s_mul_i32 s4, s8, s20
	s_lshl_b64 s[4:5], s[4:5], 4
	v_add_co_u32_e32 v2, vcc, s34, v2
	s_add_u32 s11, s28, s4
	v_addc_co_u32_e32 v3, vcc, 0, v3, vcc
	s_addc_u32 s33, s29, s5
	v_add_co_u32_e32 v16, vcc, 8, v2
	s_mul_i32 s4, s21, s22
	s_mul_i32 s5, s20, s23
	v_mov_b32_e32 v2, s22
	v_addc_co_u32_e32 v17, vcc, 0, v3, vcc
	s_add_i32 s6, s5, s4
	v_mad_u64_u32 v[2:3], s[4:5], s20, v2, v[12:13]
	v_mad_u64_u32 v[18:19], s[4:5], s20, v2, 0
	v_add_u32_e32 v3, s6, v3
	s_mul_i32 s4, s20, s21
	s_mul_hi_u32 s5, s20, s20
	v_cmp_lt_i64_e32 vcc, s[30:31], v[0:1]
	v_mul_lo_u32 v3, s20, v3
	v_mul_lo_u32 v20, s21, v2
	s_add_i32 s5, s5, s4
	v_cndmask_b32_e64 v0, 0, 1, vcc
	s_lshl_b64 s[8:9], s[20:21], 4
	v_add3_u32 v19, v19, v3, v20
	s_lshl_b64 s[28:29], s[20:21], 5
	s_add_i32 s38, s5, s4
	s_mul_i32 s39, s20, s20
	v_cmp_ne_u32_e64 s[4:5], 1, v0
	s_branch .LBB98_12
.LBB98_11:                              ;   in Loop: Header=BB98_12 Depth=1
	s_or_b64 exec, exec, s[6:7]
	v_add_co_u32_e32 v12, vcc, 32, v12
	v_addc_co_u32_e32 v13, vcc, 0, v13, vcc
	v_cmp_le_i64_e32 vcc, s[20:21], v[12:13]
	v_mov_b32_e32 v0, s29
	s_or_b64 s[12:13], vcc, s[12:13]
	v_add_co_u32_e32 v18, vcc, s28, v18
	v_addc_co_u32_e32 v19, vcc, v19, v0, vcc
	s_andn2_b64 exec, exec, s[12:13]
	s_cbranch_execz .LBB98_28
.LBB98_12:                              ; =>This Loop Header: Depth=1
                                        ;     Child Loop BB98_16 Depth 2
                                        ;       Child Loop BB98_19 Depth 3
	v_pk_mov_b32 v[0:1], 0, 0
	s_and_b64 vcc, exec, s[4:5]
	v_pk_mov_b32 v[2:3], v[0:1], v[0:1] op_sel:[0,1]
	s_cbranch_vccnz .LBB98_23
; %bb.13:                               ;   in Loop: Header=BB98_12 Depth=1
	v_pk_mov_b32 v[0:1], 0, 0
	v_pk_mov_b32 v[20:21], v[18:19], v[18:19] op_sel:[0,1]
	s_mov_b64 s[30:31], s[22:23]
	v_pk_mov_b32 v[2:3], v[0:1], v[0:1] op_sel:[0,1]
	s_branch .LBB98_16
.LBB98_14:                              ;   in Loop: Header=BB98_16 Depth=2
	s_or_b64 exec, exec, s[36:37]
.LBB98_15:                              ;   in Loop: Header=BB98_16 Depth=2
	s_or_b64 exec, exec, s[34:35]
	s_add_u32 s30, s30, 1
	v_mov_b32_e32 v22, s38
	v_add_co_u32_e32 v20, vcc, s39, v20
	s_addc_u32 s31, s31, 0
	v_addc_co_u32_e32 v21, vcc, v21, v22, vcc
	v_pk_mov_b32 v[22:23], s[14:15], s[14:15] op_sel:[0,1]
	v_cmp_ge_i64_e32 vcc, s[30:31], v[22:23]
	s_cbranch_vccnz .LBB98_23
.LBB98_16:                              ;   Parent Loop BB98_12 Depth=1
                                        ; =>  This Loop Header: Depth=2
                                        ;       Child Loop BB98_19 Depth 3
	s_and_saveexec_b64 s[34:35], s[0:1]
	s_cbranch_execz .LBB98_15
; %bb.17:                               ;   in Loop: Header=BB98_16 Depth=2
	s_lshl_b64 s[6:7], s[30:31], 3
	s_add_u32 s6, s16, s6
	s_addc_u32 s7, s17, s7
	s_load_dwordx2 s[6:7], s[6:7], 0x0
	s_mul_i32 s36, s30, s21
	s_mul_hi_u32 s37, s30, s20
	s_mul_i32 s40, s31, s20
	s_mul_i32 s41, s30, s20
	s_waitcnt lgkmcnt(0)
	s_sub_u32 s6, s6, s10
	s_subb_u32 s7, s7, 0
	s_add_i32 s36, s37, s36
	s_add_i32 s40, s36, s40
	s_mul_i32 s36, s9, s6
	s_mul_i32 s7, s8, s7
	v_mov_b32_e32 v22, s6
	s_add_i32 s36, s7, s36
	v_mad_u64_u32 v[22:23], s[6:7], s8, v22, v[16:17]
	v_add_u32_e32 v23, s36, v23
	s_mov_b64 s[36:37], 0
	v_pk_mov_b32 v[24:25], v[14:15], v[14:15] op_sel:[0,1]
	s_branch .LBB98_19
.LBB98_18:                              ;   in Loop: Header=BB98_19 Depth=3
	v_lshlrev_b64 v[26:27], 3, v[26:27]
	v_mov_b32_e32 v28, s19
	v_add_co_u32_e32 v30, vcc, s18, v26
	v_addc_co_u32_e32 v31, vcc, v28, v27, vcc
	global_load_dwordx4 v[26:29], v[22:23], off offset:-8
	global_load_dwordx2 v[32:33], v[30:31], off
	v_add_co_u32_e32 v24, vcc, 32, v24
	v_addc_co_u32_e32 v25, vcc, 0, v25, vcc
	v_add_co_u32_e32 v22, vcc, 0x200, v22
	v_cmp_le_i64_e64 s[6:7], s[20:21], v[24:25]
	s_or_b64 s[36:37], s[6:7], s[36:37]
	v_addc_co_u32_e32 v23, vcc, 0, v23, vcc
	s_waitcnt vmcnt(1)
	v_fmac_f64_e32 v[0:1], 0, v[26:27]
	s_waitcnt vmcnt(0)
	v_fmac_f64_e32 v[2:3], v[32:33], v[26:27]
	v_fmac_f64_e32 v[0:1], v[32:33], v[28:29]
	;; [unrolled: 1-line block ×3, first 2 shown]
	s_andn2_b64 exec, exec, s[36:37]
	s_cbranch_execz .LBB98_14
.LBB98_19:                              ;   Parent Loop BB98_12 Depth=1
                                        ;     Parent Loop BB98_16 Depth=2
                                        ; =>    This Inner Loop Header: Depth=3
	s_and_b64 vcc, exec, s[24:25]
	s_cbranch_vccz .LBB98_21
; %bb.20:                               ;   in Loop: Header=BB98_19 Depth=3
	v_mov_b32_e32 v26, s40
	v_add_co_u32_e32 v27, vcc, s41, v24
	v_addc_co_u32_e32 v26, vcc, v25, v26, vcc
	v_mul_lo_u32 v28, v27, s21
	v_mul_lo_u32 v29, v26, s20
	v_mad_u64_u32 v[26:27], s[6:7], v27, s20, v[12:13]
	v_add3_u32 v27, v29, v27, v28
	s_cbranch_execnz .LBB98_18
	s_branch .LBB98_22
.LBB98_21:                              ;   in Loop: Header=BB98_19 Depth=3
                                        ; implicit-def: $vgpr26_vgpr27
.LBB98_22:                              ;   in Loop: Header=BB98_19 Depth=3
	v_add_co_u32_e32 v26, vcc, v20, v24
	v_addc_co_u32_e32 v27, vcc, v21, v25, vcc
	s_branch .LBB98_18
.LBB98_23:                              ;   in Loop: Header=BB98_12 Depth=1
	s_nop 0
	v_mov_b32_dpp v20, v2 row_shr:1 row_mask:0xf bank_mask:0xf
	v_mov_b32_dpp v21, v3 row_shr:1 row_mask:0xf bank_mask:0xf
	v_mov_b32_dpp v22, v0 row_shr:1 row_mask:0xf bank_mask:0xf
	v_mov_b32_dpp v23, v1 row_shr:1 row_mask:0xf bank_mask:0xf
	v_add_f64 v[2:3], v[2:3], v[20:21]
	v_add_f64 v[0:1], v[0:1], v[22:23]
	s_nop 0
	v_mov_b32_dpp v20, v2 row_shr:2 row_mask:0xf bank_mask:0xf
	v_mov_b32_dpp v21, v3 row_shr:2 row_mask:0xf bank_mask:0xf
	v_mov_b32_dpp v22, v0 row_shr:2 row_mask:0xf bank_mask:0xf
	v_mov_b32_dpp v23, v1 row_shr:2 row_mask:0xf bank_mask:0xf
	v_add_f64 v[2:3], v[2:3], v[20:21]
	v_add_f64 v[0:1], v[0:1], v[22:23]
	;; [unrolled: 7-line block ×4, first 2 shown]
	s_nop 0
	v_mov_b32_dpp v20, v2 row_bcast:15 row_mask:0xa bank_mask:0xf
	v_mov_b32_dpp v21, v3 row_bcast:15 row_mask:0xa bank_mask:0xf
	;; [unrolled: 1-line block ×4, first 2 shown]
	s_and_saveexec_b64 s[6:7], s[2:3]
	s_cbranch_execz .LBB98_11
; %bb.24:                               ;   in Loop: Header=BB98_12 Depth=1
	v_add_f64 v[24:25], v[2:3], v[20:21]
	v_add_f64 v[2:3], v[0:1], v[22:23]
	v_mul_f64 v[0:1], v[2:3], -v[6:7]
	v_mul_f64 v[2:3], v[4:5], v[2:3]
	v_lshlrev_b64 v[20:21], 4, v[12:13]
	v_fmac_f64_e32 v[0:1], v[4:5], v[24:25]
	v_fmac_f64_e32 v[2:3], v[6:7], v[24:25]
	s_and_saveexec_b64 s[30:31], s[26:27]
	s_xor_b64 s[30:31], exec, s[30:31]
	s_cbranch_execz .LBB98_26
; %bb.25:                               ;   in Loop: Header=BB98_12 Depth=1
	v_mov_b32_e32 v22, s33
	v_add_co_u32_e32 v20, vcc, s11, v20
	v_addc_co_u32_e32 v21, vcc, v22, v21, vcc
	global_store_dwordx4 v[20:21], v[0:3], off
                                        ; implicit-def: $vgpr20_vgpr21
                                        ; implicit-def: $vgpr0_vgpr1
.LBB98_26:                              ;   in Loop: Header=BB98_12 Depth=1
	s_andn2_saveexec_b64 s[30:31], s[30:31]
	s_cbranch_execz .LBB98_11
; %bb.27:                               ;   in Loop: Header=BB98_12 Depth=1
	v_mov_b32_e32 v22, s33
	v_add_co_u32_e32 v24, vcc, s11, v20
	v_addc_co_u32_e32 v25, vcc, v22, v21, vcc
	global_load_dwordx4 v[20:23], v[24:25], off
	s_waitcnt vmcnt(0)
	v_fmac_f64_e32 v[0:1], v[8:9], v[20:21]
	v_fmac_f64_e32 v[2:3], v[10:11], v[20:21]
	v_fma_f64 v[0:1], -v[10:11], v[22:23], v[0:1]
	v_fmac_f64_e32 v[2:3], v[8:9], v[22:23]
	global_store_dwordx4 v[24:25], v[0:3], off
	s_branch .LBB98_11
.LBB98_28:
	s_endpgm
	.section	.rodata,"a",@progbits
	.p2align	6, 0x0
	.amdhsa_kernel _ZN9rocsparseL22bsrxmvn_general_kernelILj1024ELj32E21rocsparse_complex_numIdElldS2_S2_EEv20rocsparse_direction_NS_24const_host_device_scalarIT1_EET3_PKS7_PKT2_SC_S9_PKT4_S7_PKT5_S6_PT6_21rocsparse_index_base_b
		.amdhsa_group_segment_fixed_size 16384
		.amdhsa_private_segment_fixed_size 0
		.amdhsa_kernarg_size 120
		.amdhsa_user_sgpr_count 8
		.amdhsa_user_sgpr_private_segment_buffer 1
		.amdhsa_user_sgpr_dispatch_ptr 1
		.amdhsa_user_sgpr_queue_ptr 0
		.amdhsa_user_sgpr_kernarg_segment_ptr 1
		.amdhsa_user_sgpr_dispatch_id 0
		.amdhsa_user_sgpr_flat_scratch_init 0
		.amdhsa_user_sgpr_kernarg_preload_length 0
		.amdhsa_user_sgpr_kernarg_preload_offset 0
		.amdhsa_user_sgpr_private_segment_size 0
		.amdhsa_uses_dynamic_stack 0
		.amdhsa_system_sgpr_private_segment_wavefront_offset 0
		.amdhsa_system_sgpr_workgroup_id_x 1
		.amdhsa_system_sgpr_workgroup_id_y 0
		.amdhsa_system_sgpr_workgroup_id_z 0
		.amdhsa_system_sgpr_workgroup_info 0
		.amdhsa_system_vgpr_workitem_id 2
		.amdhsa_next_free_vgpr 34
		.amdhsa_next_free_sgpr 42
		.amdhsa_accum_offset 36
		.amdhsa_reserve_vcc 1
		.amdhsa_reserve_flat_scratch 0
		.amdhsa_float_round_mode_32 0
		.amdhsa_float_round_mode_16_64 0
		.amdhsa_float_denorm_mode_32 3
		.amdhsa_float_denorm_mode_16_64 3
		.amdhsa_dx10_clamp 1
		.amdhsa_ieee_mode 1
		.amdhsa_fp16_overflow 0
		.amdhsa_tg_split 0
		.amdhsa_exception_fp_ieee_invalid_op 0
		.amdhsa_exception_fp_denorm_src 0
		.amdhsa_exception_fp_ieee_div_zero 0
		.amdhsa_exception_fp_ieee_overflow 0
		.amdhsa_exception_fp_ieee_underflow 0
		.amdhsa_exception_fp_ieee_inexact 0
		.amdhsa_exception_int_div_zero 0
	.end_amdhsa_kernel
	.section	.text._ZN9rocsparseL22bsrxmvn_general_kernelILj1024ELj32E21rocsparse_complex_numIdElldS2_S2_EEv20rocsparse_direction_NS_24const_host_device_scalarIT1_EET3_PKS7_PKT2_SC_S9_PKT4_S7_PKT5_S6_PT6_21rocsparse_index_base_b,"axG",@progbits,_ZN9rocsparseL22bsrxmvn_general_kernelILj1024ELj32E21rocsparse_complex_numIdElldS2_S2_EEv20rocsparse_direction_NS_24const_host_device_scalarIT1_EET3_PKS7_PKT2_SC_S9_PKT4_S7_PKT5_S6_PT6_21rocsparse_index_base_b,comdat
.Lfunc_end98:
	.size	_ZN9rocsparseL22bsrxmvn_general_kernelILj1024ELj32E21rocsparse_complex_numIdElldS2_S2_EEv20rocsparse_direction_NS_24const_host_device_scalarIT1_EET3_PKS7_PKT2_SC_S9_PKT4_S7_PKT5_S6_PT6_21rocsparse_index_base_b, .Lfunc_end98-_ZN9rocsparseL22bsrxmvn_general_kernelILj1024ELj32E21rocsparse_complex_numIdElldS2_S2_EEv20rocsparse_direction_NS_24const_host_device_scalarIT1_EET3_PKS7_PKT2_SC_S9_PKT4_S7_PKT5_S6_PT6_21rocsparse_index_base_b
                                        ; -- End function
	.section	.AMDGPU.csdata,"",@progbits
; Kernel info:
; codeLenInByte = 1584
; NumSgprs: 46
; NumVgprs: 34
; NumAgprs: 0
; TotalNumVgprs: 34
; ScratchSize: 0
; MemoryBound: 0
; FloatMode: 240
; IeeeMode: 1
; LDSByteSize: 16384 bytes/workgroup (compile time only)
; SGPRBlocks: 5
; VGPRBlocks: 4
; NumSGPRsForWavesPerEU: 46
; NumVGPRsForWavesPerEU: 34
; AccumOffset: 36
; Occupancy: 8
; WaveLimiterHint : 1
; COMPUTE_PGM_RSRC2:SCRATCH_EN: 0
; COMPUTE_PGM_RSRC2:USER_SGPR: 8
; COMPUTE_PGM_RSRC2:TRAP_HANDLER: 0
; COMPUTE_PGM_RSRC2:TGID_X_EN: 1
; COMPUTE_PGM_RSRC2:TGID_Y_EN: 0
; COMPUTE_PGM_RSRC2:TGID_Z_EN: 0
; COMPUTE_PGM_RSRC2:TIDIG_COMP_CNT: 2
; COMPUTE_PGM_RSRC3_GFX90A:ACCUM_OFFSET: 8
; COMPUTE_PGM_RSRC3_GFX90A:TG_SPLIT: 0
	.section	.text._ZN9rocsparseL22bsrxmvn_general_kernelILj64ELj8E21rocsparse_complex_numIdEiiS1_IfES2_S2_EEv20rocsparse_direction_NS_24const_host_device_scalarIT1_EET3_PKS8_PKT2_SD_SA_PKT4_S8_PKT5_S7_PT6_21rocsparse_index_base_b,"axG",@progbits,_ZN9rocsparseL22bsrxmvn_general_kernelILj64ELj8E21rocsparse_complex_numIdEiiS1_IfES2_S2_EEv20rocsparse_direction_NS_24const_host_device_scalarIT1_EET3_PKS8_PKT2_SD_SA_PKT4_S8_PKT5_S7_PT6_21rocsparse_index_base_b,comdat
	.globl	_ZN9rocsparseL22bsrxmvn_general_kernelILj64ELj8E21rocsparse_complex_numIdEiiS1_IfES2_S2_EEv20rocsparse_direction_NS_24const_host_device_scalarIT1_EET3_PKS8_PKT2_SD_SA_PKT4_S8_PKT5_S7_PT6_21rocsparse_index_base_b ; -- Begin function _ZN9rocsparseL22bsrxmvn_general_kernelILj64ELj8E21rocsparse_complex_numIdEiiS1_IfES2_S2_EEv20rocsparse_direction_NS_24const_host_device_scalarIT1_EET3_PKS8_PKT2_SD_SA_PKT4_S8_PKT5_S7_PT6_21rocsparse_index_base_b
	.p2align	8
	.type	_ZN9rocsparseL22bsrxmvn_general_kernelILj64ELj8E21rocsparse_complex_numIdEiiS1_IfES2_S2_EEv20rocsparse_direction_NS_24const_host_device_scalarIT1_EET3_PKS8_PKT2_SD_SA_PKT4_S8_PKT5_S7_PT6_21rocsparse_index_base_b,@function
_ZN9rocsparseL22bsrxmvn_general_kernelILj64ELj8E21rocsparse_complex_numIdEiiS1_IfES2_S2_EEv20rocsparse_direction_NS_24const_host_device_scalarIT1_EET3_PKS8_PKT2_SD_SA_PKT4_S8_PKT5_S7_PT6_21rocsparse_index_base_b: ; @_ZN9rocsparseL22bsrxmvn_general_kernelILj64ELj8E21rocsparse_complex_numIdEiiS1_IfES2_S2_EEv20rocsparse_direction_NS_24const_host_device_scalarIT1_EET3_PKS8_PKT2_SD_SA_PKT4_S8_PKT5_S7_PT6_21rocsparse_index_base_b
; %bb.0:
	s_load_dwordx2 s[10:11], s[6:7], 0x70
	s_load_dwordx4 s[12:15], s[6:7], 0x8
	s_load_dwordx2 s[20:21], s[4:5], 0x4
	s_load_dwordx4 s[16:19], s[6:7], 0x58
	s_mov_b64 s[2:3], src_shared_base
	v_bfe_u32 v2, v0, 10, 10
	s_waitcnt lgkmcnt(0)
	s_bitcmp1_b32 s11, 0
	s_cselect_b64 s[0:1], -1, 0
	s_and_b64 vcc, s[0:1], exec
	s_cselect_b32 s2, s3, s13
	s_lshr_b32 s4, s20, 16
	v_and_b32_e32 v1, 0x3ff, v0
	s_mul_i32 s4, s4, s21
	v_mul_u32_u24_e32 v2, s21, v2
	v_mad_u32_u24 v2, s4, v1, v2
	v_bfe_u32 v0, v0, 20, 10
	v_add_lshl_u32 v0, v2, v0, 3
	v_mov_b32_e32 v6, s12
	v_add_u32_e32 v7, 0x200, v0
	v_pk_mov_b32 v[2:3], s[12:13], s[12:13] op_sel:[0,1]
	v_pk_mov_b32 v[4:5], s[16:17], s[16:17] op_sel:[0,1]
	ds_write2st64_b64 v0, v[4:5], v[2:3] offset1:1
	v_cndmask_b32_e64 v2, v6, v7, s[0:1]
	v_mov_b32_e32 v3, s2
	flat_load_dwordx2 v[4:5], v[2:3]
	s_xor_b64 s[4:5], s[0:1], -1
	v_pk_mov_b32 v[6:7], s[14:15], s[14:15] op_sel:[0,1]
	s_cbranch_vccnz .LBB99_2
; %bb.1:
	v_pk_mov_b32 v[2:3], s[12:13], s[12:13] op_sel:[0,1]
	flat_load_dwordx2 v[6:7], v[2:3] offset:8
.LBB99_2:
	s_and_b64 s[12:13], s[0:1], exec
	s_cselect_b32 s2, s3, s17
	v_mov_b32_e32 v2, s16
	v_cndmask_b32_e64 v2, v2, v0, s[0:1]
	v_mov_b32_e32 v3, s2
	flat_load_dwordx2 v[8:9], v[2:3]
	s_andn2_b64 vcc, exec, s[4:5]
	v_pk_mov_b32 v[10:11], s[18:19], s[18:19] op_sel:[0,1]
	s_cbranch_vccnz .LBB99_4
; %bb.3:
	v_pk_mov_b32 v[2:3], s[16:17], s[16:17] op_sel:[0,1]
	flat_load_dwordx2 v[10:11], v[2:3] offset:8
.LBB99_4:
	s_waitcnt vmcnt(0) lgkmcnt(0)
	v_cmp_eq_f64_e32 vcc, 0, v[4:5]
	v_cmp_eq_f64_e64 s[0:1], 0, v[6:7]
	s_and_b64 s[4:5], vcc, s[0:1]
	s_mov_b64 s[0:1], -1
	s_and_saveexec_b64 s[2:3], s[4:5]
; %bb.5:
	v_cmp_neq_f64_e32 vcc, 1.0, v[8:9]
	v_cmp_neq_f64_e64 s[0:1], 0, v[10:11]
	s_or_b64 s[0:1], vcc, s[0:1]
	s_orn2_b64 s[0:1], s[0:1], exec
; %bb.6:
	s_or_b64 exec, exec, s[2:3]
	s_and_saveexec_b64 s[2:3], s[0:1]
	s_cbranch_execz .LBB99_28
; %bb.7:
	s_load_dwordx2 s[0:1], s[6:7], 0x20
	s_waitcnt lgkmcnt(0)
	s_cmp_eq_u64 s[0:1], 0
	s_cbranch_scc1 .LBB99_9
; %bb.8:
	s_ashr_i32 s9, s8, 31
	s_lshl_b64 s[2:3], s[8:9], 2
	s_add_u32 s0, s0, s2
	s_addc_u32 s1, s1, s3
	s_load_dword s0, s[0:1], 0x0
	s_waitcnt lgkmcnt(0)
	s_sub_i32 s8, s0, s10
.LBB99_9:
	s_load_dword s11, s[6:7], 0x48
	v_lshrrev_b32_e32 v12, 3, v1
	s_waitcnt lgkmcnt(0)
	v_cmp_gt_i32_e32 vcc, s11, v12
	s_and_b64 exec, exec, vcc
	s_cbranch_execz .LBB99_28
; %bb.10:
	s_load_dwordx8 s[12:19], s[6:7], 0x28
	s_ashr_i32 s9, s8, 31
	s_lshl_b64 s[0:1], s[8:9], 2
	s_mul_hi_u32 s31, s11, s11
	s_mul_i32 s33, s11, s11
	s_waitcnt lgkmcnt(0)
	s_add_u32 s2, s12, s0
	s_addc_u32 s3, s13, s1
	s_load_dword s4, s[2:3], 0x0
	s_load_dwordx2 s[12:13], s[6:7], 0x68
	s_load_dwordx2 s[20:21], s[6:7], 0x50
	v_cmp_eq_f64_e32 vcc, 0, v[8:9]
	s_mul_i32 s35, s8, s11
	s_waitcnt lgkmcnt(0)
	s_sub_i32 s30, s4, s10
	s_add_u32 s2, s2, 4
	s_addc_u32 s3, s3, 0
	s_add_u32 s0, s14, s0
	s_addc_u32 s1, s15, s1
	s_cmp_eq_u64 s[14:15], 0
	s_cselect_b32 s1, s3, s1
	s_cselect_b32 s0, s2, s0
	s_load_dword s2, s[0:1], 0x0
	s_load_dword s3, s[6:7], 0x0
	s_mul_hi_u32 s8, s30, s33
	v_and_b32_e32 v14, 7, v1
	s_mov_b64 s[22:23], 0
	s_waitcnt lgkmcnt(0)
	s_sub_i32 s34, s2, s10
	s_cmp_lt_i32 s4, s2
	s_cselect_b64 s[24:25], -1, 0
	s_cmp_lg_u32 s3, 0
	v_cmp_eq_f64_e64 s[4:5], 0, v[10:11]
	s_cselect_b64 s[6:7], -1, 0
	s_and_b64 s[14:15], vcc, s[4:5]
	s_ashr_i32 s4, s30, 31
	s_mul_i32 s5, s30, s31
	s_add_i32 s5, s8, s5
	s_mul_i32 s4, s4, s33
	v_cndmask_b32_e64 v0, 0, 1, s[24:25]
	v_cmp_gt_u32_e64 s[0:1], s11, v14
	v_cmp_eq_u32_e64 s[2:3], 7, v14
	s_add_i32 s36, s5, s4
	s_mul_i32 s37, s30, s33
	v_mul_lo_u32 v24, s11, v12
	s_lshl_b32 s38, s11, 3
	v_mov_b32_e32 v15, 0
	v_mul_lo_u32 v25, s11, v14
	v_cmp_ne_u32_e64 s[4:5], 1, v0
	s_branch .LBB99_12
.LBB99_11:                              ;   in Loop: Header=BB99_12 Depth=1
	s_or_b64 exec, exec, s[8:9]
	v_add_u32_e32 v12, 8, v12
	v_cmp_le_i32_e32 vcc, s11, v12
	s_or_b64 s[22:23], vcc, s[22:23]
	v_add_u32_e32 v24, s38, v24
	s_andn2_b64 exec, exec, s[22:23]
	s_cbranch_execz .LBB99_28
.LBB99_12:                              ; =>This Loop Header: Depth=1
                                        ;     Child Loop BB99_16 Depth 2
                                        ;       Child Loop BB99_19 Depth 3
	v_pk_mov_b32 v[0:1], 0, 0
	s_and_b64 vcc, exec, s[4:5]
	v_pk_mov_b32 v[2:3], v[0:1], v[0:1] op_sel:[0,1]
	s_cbranch_vccnz .LBB99_23
; %bb.13:                               ;   in Loop: Header=BB99_12 Depth=1
	v_ashrrev_i32_e32 v0, 31, v24
	v_mov_b32_e32 v1, s36
	v_add_co_u32_e32 v16, vcc, s37, v24
	v_addc_co_u32_e32 v17, vcc, v1, v0, vcc
	v_pk_mov_b32 v[0:1], 0, 0
	v_ashrrev_i32_e32 v13, 31, v12
	s_mov_b32 s8, s30
	v_pk_mov_b32 v[2:3], v[0:1], v[0:1] op_sel:[0,1]
	s_branch .LBB99_16
.LBB99_14:                              ;   in Loop: Header=BB99_16 Depth=2
	s_or_b64 exec, exec, s[26:27]
.LBB99_15:                              ;   in Loop: Header=BB99_16 Depth=2
	s_or_b64 exec, exec, s[24:25]
	s_add_i32 s8, s8, 1
	v_mov_b32_e32 v18, s31
	v_add_co_u32_e32 v16, vcc, s33, v16
	s_cmp_ge_i32 s8, s34
	v_addc_co_u32_e32 v17, vcc, v17, v18, vcc
	s_cbranch_scc1 .LBB99_23
.LBB99_16:                              ;   Parent Loop BB99_12 Depth=1
                                        ; =>  This Loop Header: Depth=2
                                        ;       Child Loop BB99_19 Depth 3
	s_and_saveexec_b64 s[24:25], s[0:1]
	s_cbranch_execz .LBB99_15
; %bb.17:                               ;   in Loop: Header=BB99_16 Depth=2
	s_ashr_i32 s9, s8, 31
	s_lshl_b64 s[26:27], s[8:9], 2
	s_add_u32 s26, s16, s26
	s_addc_u32 s27, s17, s27
	s_load_dword s26, s[26:27], 0x0
	s_mul_i32 s27, s31, s8
	v_mov_b32_e32 v18, s8
	s_mul_i32 s9, s33, s9
	s_add_i32 s9, s9, s27
	s_waitcnt lgkmcnt(0)
	s_sub_i32 s28, s26, s10
	v_mad_u64_u32 v[18:19], s[26:27], s33, v18, v[12:13]
	v_add_u32_e32 v19, s9, v19
	s_mul_i32 s9, s28, s11
	s_mov_b64 s[26:27], 0
	v_mov_b32_e32 v26, v25
	v_pk_mov_b32 v[20:21], v[14:15], v[14:15] op_sel:[0,1]
	s_branch .LBB99_19
.LBB99_18:                              ;   in Loop: Header=BB99_19 Depth=3
	v_lshlrev_b64 v[22:23], 3, v[22:23]
	v_add_u32_e32 v28, s9, v20
	v_mov_b32_e32 v27, s19
	v_add_co_u32_e32 v22, vcc, s18, v22
	v_ashrrev_i32_e32 v29, 31, v28
	v_addc_co_u32_e32 v23, vcc, v27, v23, vcc
	v_lshlrev_b64 v[28:29], 4, v[28:29]
	v_mov_b32_e32 v27, s21
	v_add_co_u32_e32 v28, vcc, s20, v28
	global_load_dwordx2 v[22:23], v[22:23], off
	v_addc_co_u32_e32 v29, vcc, v27, v29, vcc
	global_load_dwordx4 v[28:31], v[28:29], off
	v_add_co_u32_e32 v20, vcc, 8, v20
	v_addc_co_u32_e32 v21, vcc, 0, v21, vcc
	v_cmp_le_i32_e32 vcc, s11, v20
	s_or_b64 s[26:27], vcc, s[26:27]
	v_add_u32_e32 v26, s38, v26
	s_waitcnt vmcnt(1)
	v_cvt_f64_f32_e32 v[32:33], v22
	v_cvt_f64_f32_e32 v[22:23], v23
	s_waitcnt vmcnt(0)
	v_fmac_f64_e32 v[2:3], v[32:33], v[28:29]
	v_fmac_f64_e32 v[0:1], v[22:23], v[28:29]
	v_fma_f64 v[2:3], -v[22:23], v[30:31], v[2:3]
	v_fmac_f64_e32 v[0:1], v[32:33], v[30:31]
	s_andn2_b64 exec, exec, s[26:27]
	s_cbranch_execz .LBB99_14
.LBB99_19:                              ;   Parent Loop BB99_12 Depth=1
                                        ;     Parent Loop BB99_16 Depth=2
                                        ; =>    This Inner Loop Header: Depth=3
	s_and_b64 vcc, exec, s[6:7]
	s_cbranch_vccz .LBB99_21
; %bb.20:                               ;   in Loop: Header=BB99_19 Depth=3
	v_ashrrev_i32_e32 v23, 31, v26
	v_add_co_u32_e32 v22, vcc, v18, v26
	v_addc_co_u32_e32 v23, vcc, v19, v23, vcc
	s_cbranch_execnz .LBB99_18
	s_branch .LBB99_22
.LBB99_21:                              ;   in Loop: Header=BB99_19 Depth=3
                                        ; implicit-def: $vgpr22_vgpr23
.LBB99_22:                              ;   in Loop: Header=BB99_19 Depth=3
	v_add_co_u32_e32 v22, vcc, v16, v20
	v_addc_co_u32_e32 v23, vcc, v17, v21, vcc
	s_branch .LBB99_18
.LBB99_23:                              ;   in Loop: Header=BB99_12 Depth=1
	s_nop 0
	v_mov_b32_dpp v16, v2 row_shr:1 row_mask:0xf bank_mask:0xf
	v_mov_b32_dpp v17, v3 row_shr:1 row_mask:0xf bank_mask:0xf
	;; [unrolled: 1-line block ×4, first 2 shown]
	v_add_f64 v[2:3], v[2:3], v[16:17]
	v_add_f64 v[0:1], v[0:1], v[18:19]
	s_nop 0
	v_mov_b32_dpp v16, v2 row_shr:2 row_mask:0xf bank_mask:0xf
	v_mov_b32_dpp v17, v3 row_shr:2 row_mask:0xf bank_mask:0xf
	;; [unrolled: 1-line block ×4, first 2 shown]
	v_add_f64 v[2:3], v[2:3], v[16:17]
	v_add_f64 v[0:1], v[0:1], v[18:19]
	s_nop 0
	v_mov_b32_dpp v16, v2 row_shr:4 row_mask:0xf bank_mask:0xe
	v_mov_b32_dpp v17, v3 row_shr:4 row_mask:0xf bank_mask:0xe
	;; [unrolled: 1-line block ×4, first 2 shown]
	s_and_saveexec_b64 s[8:9], s[2:3]
	s_cbranch_execz .LBB99_11
; %bb.24:                               ;   in Loop: Header=BB99_12 Depth=1
	v_add_f64 v[20:21], v[2:3], v[16:17]
	v_add_f64 v[2:3], v[0:1], v[18:19]
	v_mul_f64 v[0:1], v[2:3], -v[6:7]
	v_mul_f64 v[2:3], v[4:5], v[2:3]
	v_add_u32_e32 v16, s35, v12
	v_fmac_f64_e32 v[0:1], v[4:5], v[20:21]
	v_fmac_f64_e32 v[2:3], v[6:7], v[20:21]
	v_ashrrev_i32_e32 v17, 31, v16
	s_and_saveexec_b64 s[24:25], s[14:15]
	s_xor_b64 s[24:25], exec, s[24:25]
	s_cbranch_execz .LBB99_26
; %bb.25:                               ;   in Loop: Header=BB99_12 Depth=1
	v_lshlrev_b64 v[16:17], 4, v[16:17]
	v_mov_b32_e32 v13, s13
	v_add_co_u32_e32 v16, vcc, s12, v16
	v_addc_co_u32_e32 v17, vcc, v13, v17, vcc
	global_store_dwordx4 v[16:17], v[0:3], off
                                        ; implicit-def: $vgpr16
                                        ; implicit-def: $vgpr0_vgpr1
.LBB99_26:                              ;   in Loop: Header=BB99_12 Depth=1
	s_andn2_saveexec_b64 s[24:25], s[24:25]
	s_cbranch_execz .LBB99_11
; %bb.27:                               ;   in Loop: Header=BB99_12 Depth=1
	v_lshlrev_b64 v[16:17], 4, v[16:17]
	v_mov_b32_e32 v13, s13
	v_add_co_u32_e32 v20, vcc, s12, v16
	v_addc_co_u32_e32 v21, vcc, v13, v17, vcc
	global_load_dwordx4 v[16:19], v[20:21], off
	s_waitcnt vmcnt(0)
	v_fmac_f64_e32 v[0:1], v[8:9], v[16:17]
	v_fmac_f64_e32 v[2:3], v[10:11], v[16:17]
	v_fma_f64 v[0:1], -v[10:11], v[18:19], v[0:1]
	v_fmac_f64_e32 v[2:3], v[8:9], v[18:19]
	global_store_dwordx4 v[20:21], v[0:3], off
	s_branch .LBB99_11
.LBB99_28:
	s_endpgm
	.section	.rodata,"a",@progbits
	.p2align	6, 0x0
	.amdhsa_kernel _ZN9rocsparseL22bsrxmvn_general_kernelILj64ELj8E21rocsparse_complex_numIdEiiS1_IfES2_S2_EEv20rocsparse_direction_NS_24const_host_device_scalarIT1_EET3_PKS8_PKT2_SD_SA_PKT4_S8_PKT5_S7_PT6_21rocsparse_index_base_b
		.amdhsa_group_segment_fixed_size 1024
		.amdhsa_private_segment_fixed_size 0
		.amdhsa_kernarg_size 120
		.amdhsa_user_sgpr_count 8
		.amdhsa_user_sgpr_private_segment_buffer 1
		.amdhsa_user_sgpr_dispatch_ptr 1
		.amdhsa_user_sgpr_queue_ptr 0
		.amdhsa_user_sgpr_kernarg_segment_ptr 1
		.amdhsa_user_sgpr_dispatch_id 0
		.amdhsa_user_sgpr_flat_scratch_init 0
		.amdhsa_user_sgpr_kernarg_preload_length 0
		.amdhsa_user_sgpr_kernarg_preload_offset 0
		.amdhsa_user_sgpr_private_segment_size 0
		.amdhsa_uses_dynamic_stack 0
		.amdhsa_system_sgpr_private_segment_wavefront_offset 0
		.amdhsa_system_sgpr_workgroup_id_x 1
		.amdhsa_system_sgpr_workgroup_id_y 0
		.amdhsa_system_sgpr_workgroup_id_z 0
		.amdhsa_system_sgpr_workgroup_info 0
		.amdhsa_system_vgpr_workitem_id 2
		.amdhsa_next_free_vgpr 34
		.amdhsa_next_free_sgpr 39
		.amdhsa_accum_offset 36
		.amdhsa_reserve_vcc 1
		.amdhsa_reserve_flat_scratch 0
		.amdhsa_float_round_mode_32 0
		.amdhsa_float_round_mode_16_64 0
		.amdhsa_float_denorm_mode_32 3
		.amdhsa_float_denorm_mode_16_64 3
		.amdhsa_dx10_clamp 1
		.amdhsa_ieee_mode 1
		.amdhsa_fp16_overflow 0
		.amdhsa_tg_split 0
		.amdhsa_exception_fp_ieee_invalid_op 0
		.amdhsa_exception_fp_denorm_src 0
		.amdhsa_exception_fp_ieee_div_zero 0
		.amdhsa_exception_fp_ieee_overflow 0
		.amdhsa_exception_fp_ieee_underflow 0
		.amdhsa_exception_fp_ieee_inexact 0
		.amdhsa_exception_int_div_zero 0
	.end_amdhsa_kernel
	.section	.text._ZN9rocsparseL22bsrxmvn_general_kernelILj64ELj8E21rocsparse_complex_numIdEiiS1_IfES2_S2_EEv20rocsparse_direction_NS_24const_host_device_scalarIT1_EET3_PKS8_PKT2_SD_SA_PKT4_S8_PKT5_S7_PT6_21rocsparse_index_base_b,"axG",@progbits,_ZN9rocsparseL22bsrxmvn_general_kernelILj64ELj8E21rocsparse_complex_numIdEiiS1_IfES2_S2_EEv20rocsparse_direction_NS_24const_host_device_scalarIT1_EET3_PKS8_PKT2_SD_SA_PKT4_S8_PKT5_S7_PT6_21rocsparse_index_base_b,comdat
.Lfunc_end99:
	.size	_ZN9rocsparseL22bsrxmvn_general_kernelILj64ELj8E21rocsparse_complex_numIdEiiS1_IfES2_S2_EEv20rocsparse_direction_NS_24const_host_device_scalarIT1_EET3_PKS8_PKT2_SD_SA_PKT4_S8_PKT5_S7_PT6_21rocsparse_index_base_b, .Lfunc_end99-_ZN9rocsparseL22bsrxmvn_general_kernelILj64ELj8E21rocsparse_complex_numIdEiiS1_IfES2_S2_EEv20rocsparse_direction_NS_24const_host_device_scalarIT1_EET3_PKS8_PKT2_SD_SA_PKT4_S8_PKT5_S7_PT6_21rocsparse_index_base_b
                                        ; -- End function
	.section	.AMDGPU.csdata,"",@progbits
; Kernel info:
; codeLenInByte = 1352
; NumSgprs: 43
; NumVgprs: 34
; NumAgprs: 0
; TotalNumVgprs: 34
; ScratchSize: 0
; MemoryBound: 0
; FloatMode: 240
; IeeeMode: 1
; LDSByteSize: 1024 bytes/workgroup (compile time only)
; SGPRBlocks: 5
; VGPRBlocks: 4
; NumSGPRsForWavesPerEU: 43
; NumVGPRsForWavesPerEU: 34
; AccumOffset: 36
; Occupancy: 8
; WaveLimiterHint : 1
; COMPUTE_PGM_RSRC2:SCRATCH_EN: 0
; COMPUTE_PGM_RSRC2:USER_SGPR: 8
; COMPUTE_PGM_RSRC2:TRAP_HANDLER: 0
; COMPUTE_PGM_RSRC2:TGID_X_EN: 1
; COMPUTE_PGM_RSRC2:TGID_Y_EN: 0
; COMPUTE_PGM_RSRC2:TGID_Z_EN: 0
; COMPUTE_PGM_RSRC2:TIDIG_COMP_CNT: 2
; COMPUTE_PGM_RSRC3_GFX90A:ACCUM_OFFSET: 8
; COMPUTE_PGM_RSRC3_GFX90A:TG_SPLIT: 0
	.section	.text._ZN9rocsparseL22bsrxmvn_general_kernelILj256ELj16E21rocsparse_complex_numIdEiiS1_IfES2_S2_EEv20rocsparse_direction_NS_24const_host_device_scalarIT1_EET3_PKS8_PKT2_SD_SA_PKT4_S8_PKT5_S7_PT6_21rocsparse_index_base_b,"axG",@progbits,_ZN9rocsparseL22bsrxmvn_general_kernelILj256ELj16E21rocsparse_complex_numIdEiiS1_IfES2_S2_EEv20rocsparse_direction_NS_24const_host_device_scalarIT1_EET3_PKS8_PKT2_SD_SA_PKT4_S8_PKT5_S7_PT6_21rocsparse_index_base_b,comdat
	.globl	_ZN9rocsparseL22bsrxmvn_general_kernelILj256ELj16E21rocsparse_complex_numIdEiiS1_IfES2_S2_EEv20rocsparse_direction_NS_24const_host_device_scalarIT1_EET3_PKS8_PKT2_SD_SA_PKT4_S8_PKT5_S7_PT6_21rocsparse_index_base_b ; -- Begin function _ZN9rocsparseL22bsrxmvn_general_kernelILj256ELj16E21rocsparse_complex_numIdEiiS1_IfES2_S2_EEv20rocsparse_direction_NS_24const_host_device_scalarIT1_EET3_PKS8_PKT2_SD_SA_PKT4_S8_PKT5_S7_PT6_21rocsparse_index_base_b
	.p2align	8
	.type	_ZN9rocsparseL22bsrxmvn_general_kernelILj256ELj16E21rocsparse_complex_numIdEiiS1_IfES2_S2_EEv20rocsparse_direction_NS_24const_host_device_scalarIT1_EET3_PKS8_PKT2_SD_SA_PKT4_S8_PKT5_S7_PT6_21rocsparse_index_base_b,@function
_ZN9rocsparseL22bsrxmvn_general_kernelILj256ELj16E21rocsparse_complex_numIdEiiS1_IfES2_S2_EEv20rocsparse_direction_NS_24const_host_device_scalarIT1_EET3_PKS8_PKT2_SD_SA_PKT4_S8_PKT5_S7_PT6_21rocsparse_index_base_b: ; @_ZN9rocsparseL22bsrxmvn_general_kernelILj256ELj16E21rocsparse_complex_numIdEiiS1_IfES2_S2_EEv20rocsparse_direction_NS_24const_host_device_scalarIT1_EET3_PKS8_PKT2_SD_SA_PKT4_S8_PKT5_S7_PT6_21rocsparse_index_base_b
; %bb.0:
	s_load_dwordx2 s[10:11], s[6:7], 0x70
	s_load_dwordx4 s[12:15], s[6:7], 0x8
	s_load_dwordx2 s[20:21], s[4:5], 0x4
	s_load_dwordx4 s[16:19], s[6:7], 0x58
	s_mov_b64 s[2:3], src_shared_base
	v_and_b32_e32 v1, 0x3ff, v0
	s_waitcnt lgkmcnt(0)
	s_bitcmp1_b32 s11, 0
	s_cselect_b64 s[0:1], -1, 0
	s_and_b64 vcc, s[0:1], exec
	s_cselect_b32 s2, s3, s13
	s_lshr_b32 s4, s20, 16
	s_mul_i32 s4, s4, s21
	v_mul_lo_u32 v2, s4, v1
	v_bfe_u32 v3, v0, 10, 10
	v_mad_u32_u24 v2, v3, s21, v2
	v_bfe_u32 v0, v0, 20, 10
	v_add_lshl_u32 v0, v2, v0, 3
	v_mov_b32_e32 v6, s12
	v_add_u32_e32 v7, 0x800, v0
	v_pk_mov_b32 v[2:3], s[12:13], s[12:13] op_sel:[0,1]
	v_pk_mov_b32 v[4:5], s[16:17], s[16:17] op_sel:[0,1]
	ds_write2st64_b64 v0, v[4:5], v[2:3] offset1:4
	v_cndmask_b32_e64 v2, v6, v7, s[0:1]
	v_mov_b32_e32 v3, s2
	flat_load_dwordx2 v[4:5], v[2:3]
	s_xor_b64 s[4:5], s[0:1], -1
	v_pk_mov_b32 v[6:7], s[14:15], s[14:15] op_sel:[0,1]
	s_cbranch_vccnz .LBB100_2
; %bb.1:
	v_pk_mov_b32 v[2:3], s[12:13], s[12:13] op_sel:[0,1]
	flat_load_dwordx2 v[6:7], v[2:3] offset:8
.LBB100_2:
	s_and_b64 s[12:13], s[0:1], exec
	s_cselect_b32 s2, s3, s17
	v_mov_b32_e32 v2, s16
	v_cndmask_b32_e64 v2, v2, v0, s[0:1]
	v_mov_b32_e32 v3, s2
	flat_load_dwordx2 v[8:9], v[2:3]
	s_andn2_b64 vcc, exec, s[4:5]
	v_pk_mov_b32 v[10:11], s[18:19], s[18:19] op_sel:[0,1]
	s_cbranch_vccnz .LBB100_4
; %bb.3:
	v_pk_mov_b32 v[2:3], s[16:17], s[16:17] op_sel:[0,1]
	flat_load_dwordx2 v[10:11], v[2:3] offset:8
.LBB100_4:
	s_waitcnt vmcnt(0) lgkmcnt(0)
	v_cmp_eq_f64_e32 vcc, 0, v[4:5]
	v_cmp_eq_f64_e64 s[0:1], 0, v[6:7]
	s_and_b64 s[4:5], vcc, s[0:1]
	s_mov_b64 s[0:1], -1
	s_and_saveexec_b64 s[2:3], s[4:5]
; %bb.5:
	v_cmp_neq_f64_e32 vcc, 1.0, v[8:9]
	v_cmp_neq_f64_e64 s[0:1], 0, v[10:11]
	s_or_b64 s[0:1], vcc, s[0:1]
	s_orn2_b64 s[0:1], s[0:1], exec
; %bb.6:
	s_or_b64 exec, exec, s[2:3]
	s_and_saveexec_b64 s[2:3], s[0:1]
	s_cbranch_execz .LBB100_28
; %bb.7:
	s_load_dwordx2 s[0:1], s[6:7], 0x20
	s_waitcnt lgkmcnt(0)
	s_cmp_eq_u64 s[0:1], 0
	s_cbranch_scc1 .LBB100_9
; %bb.8:
	s_ashr_i32 s9, s8, 31
	s_lshl_b64 s[2:3], s[8:9], 2
	s_add_u32 s0, s0, s2
	s_addc_u32 s1, s1, s3
	s_load_dword s0, s[0:1], 0x0
	s_waitcnt lgkmcnt(0)
	s_sub_i32 s8, s0, s10
.LBB100_9:
	s_load_dword s11, s[6:7], 0x48
	v_lshrrev_b32_e32 v12, 4, v1
	s_waitcnt lgkmcnt(0)
	v_cmp_gt_i32_e32 vcc, s11, v12
	s_and_b64 exec, exec, vcc
	s_cbranch_execz .LBB100_28
; %bb.10:
	s_load_dwordx8 s[12:19], s[6:7], 0x28
	s_ashr_i32 s9, s8, 31
	s_lshl_b64 s[0:1], s[8:9], 2
	s_mul_hi_u32 s31, s11, s11
	s_mul_i32 s33, s11, s11
	s_waitcnt lgkmcnt(0)
	s_add_u32 s2, s12, s0
	s_addc_u32 s3, s13, s1
	s_load_dword s4, s[2:3], 0x0
	s_load_dwordx2 s[12:13], s[6:7], 0x68
	s_load_dwordx2 s[20:21], s[6:7], 0x50
	v_cmp_eq_f64_e32 vcc, 0, v[8:9]
	s_mul_i32 s35, s8, s11
	s_waitcnt lgkmcnt(0)
	s_sub_i32 s30, s4, s10
	s_add_u32 s2, s2, 4
	s_addc_u32 s3, s3, 0
	s_add_u32 s0, s14, s0
	s_addc_u32 s1, s15, s1
	s_cmp_eq_u64 s[14:15], 0
	s_cselect_b32 s1, s3, s1
	s_cselect_b32 s0, s2, s0
	s_load_dword s2, s[0:1], 0x0
	s_load_dword s3, s[6:7], 0x0
	s_mul_hi_u32 s8, s30, s33
	v_and_b32_e32 v14, 15, v1
	s_mov_b64 s[22:23], 0
	s_waitcnt lgkmcnt(0)
	s_sub_i32 s34, s2, s10
	s_cmp_lt_i32 s4, s2
	s_cselect_b64 s[24:25], -1, 0
	s_cmp_lg_u32 s3, 0
	v_cmp_eq_f64_e64 s[4:5], 0, v[10:11]
	s_cselect_b64 s[6:7], -1, 0
	s_and_b64 s[14:15], vcc, s[4:5]
	s_ashr_i32 s4, s30, 31
	s_mul_i32 s5, s30, s31
	s_add_i32 s5, s8, s5
	s_mul_i32 s4, s4, s33
	v_cndmask_b32_e64 v0, 0, 1, s[24:25]
	v_cmp_gt_u32_e64 s[0:1], s11, v14
	v_cmp_eq_u32_e64 s[2:3], 15, v14
	s_add_i32 s36, s5, s4
	s_mul_i32 s37, s30, s33
	v_mul_lo_u32 v24, s11, v12
	s_lshl_b32 s38, s11, 4
	v_mov_b32_e32 v15, 0
	v_mul_lo_u32 v25, s11, v14
	v_cmp_ne_u32_e64 s[4:5], 1, v0
	s_branch .LBB100_12
.LBB100_11:                             ;   in Loop: Header=BB100_12 Depth=1
	s_or_b64 exec, exec, s[8:9]
	v_add_u32_e32 v12, 16, v12
	v_cmp_le_i32_e32 vcc, s11, v12
	s_or_b64 s[22:23], vcc, s[22:23]
	v_add_u32_e32 v24, s38, v24
	s_andn2_b64 exec, exec, s[22:23]
	s_cbranch_execz .LBB100_28
.LBB100_12:                             ; =>This Loop Header: Depth=1
                                        ;     Child Loop BB100_16 Depth 2
                                        ;       Child Loop BB100_19 Depth 3
	v_pk_mov_b32 v[0:1], 0, 0
	s_and_b64 vcc, exec, s[4:5]
	v_pk_mov_b32 v[2:3], v[0:1], v[0:1] op_sel:[0,1]
	s_cbranch_vccnz .LBB100_23
; %bb.13:                               ;   in Loop: Header=BB100_12 Depth=1
	v_ashrrev_i32_e32 v0, 31, v24
	v_mov_b32_e32 v1, s36
	v_add_co_u32_e32 v16, vcc, s37, v24
	v_addc_co_u32_e32 v17, vcc, v1, v0, vcc
	v_pk_mov_b32 v[0:1], 0, 0
	v_ashrrev_i32_e32 v13, 31, v12
	s_mov_b32 s8, s30
	v_pk_mov_b32 v[2:3], v[0:1], v[0:1] op_sel:[0,1]
	s_branch .LBB100_16
.LBB100_14:                             ;   in Loop: Header=BB100_16 Depth=2
	s_or_b64 exec, exec, s[26:27]
.LBB100_15:                             ;   in Loop: Header=BB100_16 Depth=2
	s_or_b64 exec, exec, s[24:25]
	s_add_i32 s8, s8, 1
	v_mov_b32_e32 v18, s31
	v_add_co_u32_e32 v16, vcc, s33, v16
	s_cmp_ge_i32 s8, s34
	v_addc_co_u32_e32 v17, vcc, v17, v18, vcc
	s_cbranch_scc1 .LBB100_23
.LBB100_16:                             ;   Parent Loop BB100_12 Depth=1
                                        ; =>  This Loop Header: Depth=2
                                        ;       Child Loop BB100_19 Depth 3
	s_and_saveexec_b64 s[24:25], s[0:1]
	s_cbranch_execz .LBB100_15
; %bb.17:                               ;   in Loop: Header=BB100_16 Depth=2
	s_ashr_i32 s9, s8, 31
	s_lshl_b64 s[26:27], s[8:9], 2
	s_add_u32 s26, s16, s26
	s_addc_u32 s27, s17, s27
	s_load_dword s26, s[26:27], 0x0
	s_mul_i32 s27, s31, s8
	v_mov_b32_e32 v18, s8
	s_mul_i32 s9, s33, s9
	s_add_i32 s9, s9, s27
	s_waitcnt lgkmcnt(0)
	s_sub_i32 s28, s26, s10
	v_mad_u64_u32 v[18:19], s[26:27], s33, v18, v[12:13]
	v_add_u32_e32 v19, s9, v19
	s_mul_i32 s9, s28, s11
	s_mov_b64 s[26:27], 0
	v_mov_b32_e32 v26, v25
	v_pk_mov_b32 v[20:21], v[14:15], v[14:15] op_sel:[0,1]
	s_branch .LBB100_19
.LBB100_18:                             ;   in Loop: Header=BB100_19 Depth=3
	v_lshlrev_b64 v[22:23], 3, v[22:23]
	v_add_u32_e32 v28, s9, v20
	v_mov_b32_e32 v27, s19
	v_add_co_u32_e32 v22, vcc, s18, v22
	v_ashrrev_i32_e32 v29, 31, v28
	v_addc_co_u32_e32 v23, vcc, v27, v23, vcc
	v_lshlrev_b64 v[28:29], 4, v[28:29]
	v_mov_b32_e32 v27, s21
	v_add_co_u32_e32 v28, vcc, s20, v28
	global_load_dwordx2 v[22:23], v[22:23], off
	v_addc_co_u32_e32 v29, vcc, v27, v29, vcc
	global_load_dwordx4 v[28:31], v[28:29], off
	v_add_co_u32_e32 v20, vcc, 16, v20
	v_addc_co_u32_e32 v21, vcc, 0, v21, vcc
	v_cmp_le_i32_e32 vcc, s11, v20
	s_or_b64 s[26:27], vcc, s[26:27]
	v_add_u32_e32 v26, s38, v26
	s_waitcnt vmcnt(1)
	v_cvt_f64_f32_e32 v[32:33], v22
	v_cvt_f64_f32_e32 v[22:23], v23
	s_waitcnt vmcnt(0)
	v_fmac_f64_e32 v[2:3], v[32:33], v[28:29]
	v_fmac_f64_e32 v[0:1], v[22:23], v[28:29]
	v_fma_f64 v[2:3], -v[22:23], v[30:31], v[2:3]
	v_fmac_f64_e32 v[0:1], v[32:33], v[30:31]
	s_andn2_b64 exec, exec, s[26:27]
	s_cbranch_execz .LBB100_14
.LBB100_19:                             ;   Parent Loop BB100_12 Depth=1
                                        ;     Parent Loop BB100_16 Depth=2
                                        ; =>    This Inner Loop Header: Depth=3
	s_and_b64 vcc, exec, s[6:7]
	s_cbranch_vccz .LBB100_21
; %bb.20:                               ;   in Loop: Header=BB100_19 Depth=3
	v_ashrrev_i32_e32 v23, 31, v26
	v_add_co_u32_e32 v22, vcc, v18, v26
	v_addc_co_u32_e32 v23, vcc, v19, v23, vcc
	s_cbranch_execnz .LBB100_18
	s_branch .LBB100_22
.LBB100_21:                             ;   in Loop: Header=BB100_19 Depth=3
                                        ; implicit-def: $vgpr22_vgpr23
.LBB100_22:                             ;   in Loop: Header=BB100_19 Depth=3
	v_add_co_u32_e32 v22, vcc, v16, v20
	v_addc_co_u32_e32 v23, vcc, v17, v21, vcc
	s_branch .LBB100_18
.LBB100_23:                             ;   in Loop: Header=BB100_12 Depth=1
	s_nop 0
	v_mov_b32_dpp v16, v2 row_shr:1 row_mask:0xf bank_mask:0xf
	v_mov_b32_dpp v17, v3 row_shr:1 row_mask:0xf bank_mask:0xf
	v_mov_b32_dpp v18, v0 row_shr:1 row_mask:0xf bank_mask:0xf
	v_mov_b32_dpp v19, v1 row_shr:1 row_mask:0xf bank_mask:0xf
	v_add_f64 v[2:3], v[2:3], v[16:17]
	v_add_f64 v[0:1], v[0:1], v[18:19]
	s_nop 0
	v_mov_b32_dpp v16, v2 row_shr:2 row_mask:0xf bank_mask:0xf
	v_mov_b32_dpp v17, v3 row_shr:2 row_mask:0xf bank_mask:0xf
	v_mov_b32_dpp v18, v0 row_shr:2 row_mask:0xf bank_mask:0xf
	v_mov_b32_dpp v19, v1 row_shr:2 row_mask:0xf bank_mask:0xf
	v_add_f64 v[2:3], v[2:3], v[16:17]
	v_add_f64 v[0:1], v[0:1], v[18:19]
	;; [unrolled: 7-line block ×3, first 2 shown]
	s_nop 0
	v_mov_b32_dpp v16, v2 row_shr:8 row_mask:0xf bank_mask:0xc
	v_mov_b32_dpp v17, v3 row_shr:8 row_mask:0xf bank_mask:0xc
	;; [unrolled: 1-line block ×4, first 2 shown]
	s_and_saveexec_b64 s[8:9], s[2:3]
	s_cbranch_execz .LBB100_11
; %bb.24:                               ;   in Loop: Header=BB100_12 Depth=1
	v_add_f64 v[20:21], v[2:3], v[16:17]
	v_add_f64 v[2:3], v[0:1], v[18:19]
	v_mul_f64 v[0:1], v[2:3], -v[6:7]
	v_mul_f64 v[2:3], v[4:5], v[2:3]
	v_add_u32_e32 v16, s35, v12
	v_fmac_f64_e32 v[0:1], v[4:5], v[20:21]
	v_fmac_f64_e32 v[2:3], v[6:7], v[20:21]
	v_ashrrev_i32_e32 v17, 31, v16
	s_and_saveexec_b64 s[24:25], s[14:15]
	s_xor_b64 s[24:25], exec, s[24:25]
	s_cbranch_execz .LBB100_26
; %bb.25:                               ;   in Loop: Header=BB100_12 Depth=1
	v_lshlrev_b64 v[16:17], 4, v[16:17]
	v_mov_b32_e32 v13, s13
	v_add_co_u32_e32 v16, vcc, s12, v16
	v_addc_co_u32_e32 v17, vcc, v13, v17, vcc
	global_store_dwordx4 v[16:17], v[0:3], off
                                        ; implicit-def: $vgpr16
                                        ; implicit-def: $vgpr0_vgpr1
.LBB100_26:                             ;   in Loop: Header=BB100_12 Depth=1
	s_andn2_saveexec_b64 s[24:25], s[24:25]
	s_cbranch_execz .LBB100_11
; %bb.27:                               ;   in Loop: Header=BB100_12 Depth=1
	v_lshlrev_b64 v[16:17], 4, v[16:17]
	v_mov_b32_e32 v13, s13
	v_add_co_u32_e32 v20, vcc, s12, v16
	v_addc_co_u32_e32 v21, vcc, v13, v17, vcc
	global_load_dwordx4 v[16:19], v[20:21], off
	s_waitcnt vmcnt(0)
	v_fmac_f64_e32 v[0:1], v[8:9], v[16:17]
	v_fmac_f64_e32 v[2:3], v[10:11], v[16:17]
	v_fma_f64 v[0:1], -v[10:11], v[18:19], v[0:1]
	v_fmac_f64_e32 v[2:3], v[8:9], v[18:19]
	global_store_dwordx4 v[20:21], v[0:3], off
	s_branch .LBB100_11
.LBB100_28:
	s_endpgm
	.section	.rodata,"a",@progbits
	.p2align	6, 0x0
	.amdhsa_kernel _ZN9rocsparseL22bsrxmvn_general_kernelILj256ELj16E21rocsparse_complex_numIdEiiS1_IfES2_S2_EEv20rocsparse_direction_NS_24const_host_device_scalarIT1_EET3_PKS8_PKT2_SD_SA_PKT4_S8_PKT5_S7_PT6_21rocsparse_index_base_b
		.amdhsa_group_segment_fixed_size 4096
		.amdhsa_private_segment_fixed_size 0
		.amdhsa_kernarg_size 120
		.amdhsa_user_sgpr_count 8
		.amdhsa_user_sgpr_private_segment_buffer 1
		.amdhsa_user_sgpr_dispatch_ptr 1
		.amdhsa_user_sgpr_queue_ptr 0
		.amdhsa_user_sgpr_kernarg_segment_ptr 1
		.amdhsa_user_sgpr_dispatch_id 0
		.amdhsa_user_sgpr_flat_scratch_init 0
		.amdhsa_user_sgpr_kernarg_preload_length 0
		.amdhsa_user_sgpr_kernarg_preload_offset 0
		.amdhsa_user_sgpr_private_segment_size 0
		.amdhsa_uses_dynamic_stack 0
		.amdhsa_system_sgpr_private_segment_wavefront_offset 0
		.amdhsa_system_sgpr_workgroup_id_x 1
		.amdhsa_system_sgpr_workgroup_id_y 0
		.amdhsa_system_sgpr_workgroup_id_z 0
		.amdhsa_system_sgpr_workgroup_info 0
		.amdhsa_system_vgpr_workitem_id 2
		.amdhsa_next_free_vgpr 34
		.amdhsa_next_free_sgpr 39
		.amdhsa_accum_offset 36
		.amdhsa_reserve_vcc 1
		.amdhsa_reserve_flat_scratch 0
		.amdhsa_float_round_mode_32 0
		.amdhsa_float_round_mode_16_64 0
		.amdhsa_float_denorm_mode_32 3
		.amdhsa_float_denorm_mode_16_64 3
		.amdhsa_dx10_clamp 1
		.amdhsa_ieee_mode 1
		.amdhsa_fp16_overflow 0
		.amdhsa_tg_split 0
		.amdhsa_exception_fp_ieee_invalid_op 0
		.amdhsa_exception_fp_denorm_src 0
		.amdhsa_exception_fp_ieee_div_zero 0
		.amdhsa_exception_fp_ieee_overflow 0
		.amdhsa_exception_fp_ieee_underflow 0
		.amdhsa_exception_fp_ieee_inexact 0
		.amdhsa_exception_int_div_zero 0
	.end_amdhsa_kernel
	.section	.text._ZN9rocsparseL22bsrxmvn_general_kernelILj256ELj16E21rocsparse_complex_numIdEiiS1_IfES2_S2_EEv20rocsparse_direction_NS_24const_host_device_scalarIT1_EET3_PKS8_PKT2_SD_SA_PKT4_S8_PKT5_S7_PT6_21rocsparse_index_base_b,"axG",@progbits,_ZN9rocsparseL22bsrxmvn_general_kernelILj256ELj16E21rocsparse_complex_numIdEiiS1_IfES2_S2_EEv20rocsparse_direction_NS_24const_host_device_scalarIT1_EET3_PKS8_PKT2_SD_SA_PKT4_S8_PKT5_S7_PT6_21rocsparse_index_base_b,comdat
.Lfunc_end100:
	.size	_ZN9rocsparseL22bsrxmvn_general_kernelILj256ELj16E21rocsparse_complex_numIdEiiS1_IfES2_S2_EEv20rocsparse_direction_NS_24const_host_device_scalarIT1_EET3_PKS8_PKT2_SD_SA_PKT4_S8_PKT5_S7_PT6_21rocsparse_index_base_b, .Lfunc_end100-_ZN9rocsparseL22bsrxmvn_general_kernelILj256ELj16E21rocsparse_complex_numIdEiiS1_IfES2_S2_EEv20rocsparse_direction_NS_24const_host_device_scalarIT1_EET3_PKS8_PKT2_SD_SA_PKT4_S8_PKT5_S7_PT6_21rocsparse_index_base_b
                                        ; -- End function
	.section	.AMDGPU.csdata,"",@progbits
; Kernel info:
; codeLenInByte = 1408
; NumSgprs: 43
; NumVgprs: 34
; NumAgprs: 0
; TotalNumVgprs: 34
; ScratchSize: 0
; MemoryBound: 0
; FloatMode: 240
; IeeeMode: 1
; LDSByteSize: 4096 bytes/workgroup (compile time only)
; SGPRBlocks: 5
; VGPRBlocks: 4
; NumSGPRsForWavesPerEU: 43
; NumVGPRsForWavesPerEU: 34
; AccumOffset: 36
; Occupancy: 8
; WaveLimiterHint : 1
; COMPUTE_PGM_RSRC2:SCRATCH_EN: 0
; COMPUTE_PGM_RSRC2:USER_SGPR: 8
; COMPUTE_PGM_RSRC2:TRAP_HANDLER: 0
; COMPUTE_PGM_RSRC2:TGID_X_EN: 1
; COMPUTE_PGM_RSRC2:TGID_Y_EN: 0
; COMPUTE_PGM_RSRC2:TGID_Z_EN: 0
; COMPUTE_PGM_RSRC2:TIDIG_COMP_CNT: 2
; COMPUTE_PGM_RSRC3_GFX90A:ACCUM_OFFSET: 8
; COMPUTE_PGM_RSRC3_GFX90A:TG_SPLIT: 0
	.section	.text._ZN9rocsparseL22bsrxmvn_general_kernelILj1024ELj32E21rocsparse_complex_numIdEiiS1_IfES2_S2_EEv20rocsparse_direction_NS_24const_host_device_scalarIT1_EET3_PKS8_PKT2_SD_SA_PKT4_S8_PKT5_S7_PT6_21rocsparse_index_base_b,"axG",@progbits,_ZN9rocsparseL22bsrxmvn_general_kernelILj1024ELj32E21rocsparse_complex_numIdEiiS1_IfES2_S2_EEv20rocsparse_direction_NS_24const_host_device_scalarIT1_EET3_PKS8_PKT2_SD_SA_PKT4_S8_PKT5_S7_PT6_21rocsparse_index_base_b,comdat
	.globl	_ZN9rocsparseL22bsrxmvn_general_kernelILj1024ELj32E21rocsparse_complex_numIdEiiS1_IfES2_S2_EEv20rocsparse_direction_NS_24const_host_device_scalarIT1_EET3_PKS8_PKT2_SD_SA_PKT4_S8_PKT5_S7_PT6_21rocsparse_index_base_b ; -- Begin function _ZN9rocsparseL22bsrxmvn_general_kernelILj1024ELj32E21rocsparse_complex_numIdEiiS1_IfES2_S2_EEv20rocsparse_direction_NS_24const_host_device_scalarIT1_EET3_PKS8_PKT2_SD_SA_PKT4_S8_PKT5_S7_PT6_21rocsparse_index_base_b
	.p2align	8
	.type	_ZN9rocsparseL22bsrxmvn_general_kernelILj1024ELj32E21rocsparse_complex_numIdEiiS1_IfES2_S2_EEv20rocsparse_direction_NS_24const_host_device_scalarIT1_EET3_PKS8_PKT2_SD_SA_PKT4_S8_PKT5_S7_PT6_21rocsparse_index_base_b,@function
_ZN9rocsparseL22bsrxmvn_general_kernelILj1024ELj32E21rocsparse_complex_numIdEiiS1_IfES2_S2_EEv20rocsparse_direction_NS_24const_host_device_scalarIT1_EET3_PKS8_PKT2_SD_SA_PKT4_S8_PKT5_S7_PT6_21rocsparse_index_base_b: ; @_ZN9rocsparseL22bsrxmvn_general_kernelILj1024ELj32E21rocsparse_complex_numIdEiiS1_IfES2_S2_EEv20rocsparse_direction_NS_24const_host_device_scalarIT1_EET3_PKS8_PKT2_SD_SA_PKT4_S8_PKT5_S7_PT6_21rocsparse_index_base_b
; %bb.0:
	s_load_dwordx2 s[10:11], s[6:7], 0x70
	s_load_dwordx4 s[12:15], s[6:7], 0x8
	s_load_dwordx2 s[20:21], s[4:5], 0x4
	s_load_dwordx4 s[16:19], s[6:7], 0x58
	s_mov_b64 s[2:3], src_shared_base
	v_and_b32_e32 v1, 0x3ff, v0
	s_waitcnt lgkmcnt(0)
	s_bitcmp1_b32 s11, 0
	s_cselect_b64 s[0:1], -1, 0
	s_and_b64 vcc, s[0:1], exec
	s_cselect_b32 s2, s3, s13
	s_lshr_b32 s4, s20, 16
	s_mul_i32 s4, s4, s21
	v_mul_lo_u32 v2, s4, v1
	v_bfe_u32 v3, v0, 10, 10
	v_mad_u32_u24 v2, v3, s21, v2
	v_bfe_u32 v0, v0, 20, 10
	v_add_lshl_u32 v0, v2, v0, 3
	v_mov_b32_e32 v6, s12
	v_add_u32_e32 v7, 0x2000, v0
	v_pk_mov_b32 v[2:3], s[12:13], s[12:13] op_sel:[0,1]
	v_pk_mov_b32 v[4:5], s[16:17], s[16:17] op_sel:[0,1]
	ds_write2st64_b64 v0, v[4:5], v[2:3] offset1:16
	v_cndmask_b32_e64 v2, v6, v7, s[0:1]
	v_mov_b32_e32 v3, s2
	flat_load_dwordx2 v[4:5], v[2:3]
	s_xor_b64 s[4:5], s[0:1], -1
	v_pk_mov_b32 v[6:7], s[14:15], s[14:15] op_sel:[0,1]
	s_cbranch_vccnz .LBB101_2
; %bb.1:
	v_pk_mov_b32 v[2:3], s[12:13], s[12:13] op_sel:[0,1]
	flat_load_dwordx2 v[6:7], v[2:3] offset:8
.LBB101_2:
	s_and_b64 s[12:13], s[0:1], exec
	s_cselect_b32 s2, s3, s17
	v_mov_b32_e32 v2, s16
	v_cndmask_b32_e64 v2, v2, v0, s[0:1]
	v_mov_b32_e32 v3, s2
	flat_load_dwordx2 v[8:9], v[2:3]
	s_andn2_b64 vcc, exec, s[4:5]
	v_pk_mov_b32 v[10:11], s[18:19], s[18:19] op_sel:[0,1]
	s_cbranch_vccnz .LBB101_4
; %bb.3:
	v_pk_mov_b32 v[2:3], s[16:17], s[16:17] op_sel:[0,1]
	flat_load_dwordx2 v[10:11], v[2:3] offset:8
.LBB101_4:
	s_waitcnt vmcnt(0) lgkmcnt(0)
	v_cmp_eq_f64_e32 vcc, 0, v[4:5]
	v_cmp_eq_f64_e64 s[0:1], 0, v[6:7]
	s_and_b64 s[4:5], vcc, s[0:1]
	s_mov_b64 s[0:1], -1
	s_and_saveexec_b64 s[2:3], s[4:5]
; %bb.5:
	v_cmp_neq_f64_e32 vcc, 1.0, v[8:9]
	v_cmp_neq_f64_e64 s[0:1], 0, v[10:11]
	s_or_b64 s[0:1], vcc, s[0:1]
	s_orn2_b64 s[0:1], s[0:1], exec
; %bb.6:
	s_or_b64 exec, exec, s[2:3]
	s_and_saveexec_b64 s[2:3], s[0:1]
	s_cbranch_execz .LBB101_28
; %bb.7:
	s_load_dwordx2 s[0:1], s[6:7], 0x20
	s_waitcnt lgkmcnt(0)
	s_cmp_eq_u64 s[0:1], 0
	s_cbranch_scc1 .LBB101_9
; %bb.8:
	s_ashr_i32 s9, s8, 31
	s_lshl_b64 s[2:3], s[8:9], 2
	s_add_u32 s0, s0, s2
	s_addc_u32 s1, s1, s3
	s_load_dword s0, s[0:1], 0x0
	s_waitcnt lgkmcnt(0)
	s_sub_i32 s8, s0, s10
.LBB101_9:
	s_load_dword s11, s[6:7], 0x48
	v_lshrrev_b32_e32 v12, 5, v1
	s_waitcnt lgkmcnt(0)
	v_cmp_gt_i32_e32 vcc, s11, v12
	s_and_b64 exec, exec, vcc
	s_cbranch_execz .LBB101_28
; %bb.10:
	s_load_dwordx8 s[12:19], s[6:7], 0x28
	s_ashr_i32 s9, s8, 31
	s_lshl_b64 s[0:1], s[8:9], 2
	s_mul_hi_u32 s31, s11, s11
	s_mul_i32 s33, s11, s11
	s_waitcnt lgkmcnt(0)
	s_add_u32 s2, s12, s0
	s_addc_u32 s3, s13, s1
	s_load_dword s4, s[2:3], 0x0
	s_load_dwordx2 s[12:13], s[6:7], 0x68
	s_load_dwordx2 s[20:21], s[6:7], 0x50
	v_cmp_eq_f64_e32 vcc, 0, v[8:9]
	s_mul_i32 s35, s8, s11
	s_waitcnt lgkmcnt(0)
	s_sub_i32 s30, s4, s10
	s_add_u32 s2, s2, 4
	s_addc_u32 s3, s3, 0
	s_add_u32 s0, s14, s0
	s_addc_u32 s1, s15, s1
	s_cmp_eq_u64 s[14:15], 0
	s_cselect_b32 s1, s3, s1
	s_cselect_b32 s0, s2, s0
	s_load_dword s2, s[0:1], 0x0
	s_load_dword s3, s[6:7], 0x0
	s_mul_hi_u32 s8, s30, s33
	v_and_b32_e32 v14, 31, v1
	v_mov_b32_e32 v13, 0
	s_waitcnt lgkmcnt(0)
	s_sub_i32 s34, s2, s10
	s_cmp_lt_i32 s4, s2
	s_cselect_b64 s[24:25], -1, 0
	s_cmp_lg_u32 s3, 0
	v_cmp_eq_f64_e64 s[4:5], 0, v[10:11]
	s_cselect_b64 s[6:7], -1, 0
	s_and_b64 s[14:15], vcc, s[4:5]
	s_ashr_i32 s4, s30, 31
	s_mul_i32 s5, s30, s31
	s_add_i32 s5, s8, s5
	s_mul_i32 s4, s4, s33
	v_cndmask_b32_e64 v0, 0, 1, s[24:25]
	s_mov_b64 s[22:23], 0
	v_cmp_gt_u32_e64 s[0:1], s11, v14
	v_cmp_eq_u32_e64 s[2:3], 31, v14
	s_add_i32 s36, s5, s4
	s_mul_i32 s37, s30, s33
	v_mul_lo_u32 v24, s11, v12
	s_lshl_b32 s38, s11, 5
	v_mov_b32_e32 v15, v13
	v_mul_lo_u32 v25, s11, v14
	v_cmp_ne_u32_e64 s[4:5], 1, v0
	s_branch .LBB101_12
.LBB101_11:                             ;   in Loop: Header=BB101_12 Depth=1
	s_or_b64 exec, exec, s[8:9]
	v_add_u32_e32 v12, 32, v12
	v_cmp_le_i32_e32 vcc, s11, v12
	s_or_b64 s[22:23], vcc, s[22:23]
	v_add_u32_e32 v24, s38, v24
	s_andn2_b64 exec, exec, s[22:23]
	s_cbranch_execz .LBB101_28
.LBB101_12:                             ; =>This Loop Header: Depth=1
                                        ;     Child Loop BB101_16 Depth 2
                                        ;       Child Loop BB101_19 Depth 3
	v_pk_mov_b32 v[0:1], 0, 0
	s_and_b64 vcc, exec, s[4:5]
	v_pk_mov_b32 v[2:3], v[0:1], v[0:1] op_sel:[0,1]
	s_cbranch_vccnz .LBB101_23
; %bb.13:                               ;   in Loop: Header=BB101_12 Depth=1
	v_ashrrev_i32_e32 v0, 31, v24
	v_mov_b32_e32 v1, s36
	v_add_co_u32_e32 v16, vcc, s37, v24
	v_addc_co_u32_e32 v17, vcc, v1, v0, vcc
	v_pk_mov_b32 v[0:1], 0, 0
	s_mov_b32 s8, s30
	v_pk_mov_b32 v[2:3], v[0:1], v[0:1] op_sel:[0,1]
	s_branch .LBB101_16
.LBB101_14:                             ;   in Loop: Header=BB101_16 Depth=2
	s_or_b64 exec, exec, s[26:27]
.LBB101_15:                             ;   in Loop: Header=BB101_16 Depth=2
	s_or_b64 exec, exec, s[24:25]
	s_add_i32 s8, s8, 1
	v_mov_b32_e32 v18, s31
	v_add_co_u32_e32 v16, vcc, s33, v16
	s_cmp_ge_i32 s8, s34
	v_addc_co_u32_e32 v17, vcc, v17, v18, vcc
	s_cbranch_scc1 .LBB101_23
.LBB101_16:                             ;   Parent Loop BB101_12 Depth=1
                                        ; =>  This Loop Header: Depth=2
                                        ;       Child Loop BB101_19 Depth 3
	s_and_saveexec_b64 s[24:25], s[0:1]
	s_cbranch_execz .LBB101_15
; %bb.17:                               ;   in Loop: Header=BB101_16 Depth=2
	s_ashr_i32 s9, s8, 31
	s_lshl_b64 s[26:27], s[8:9], 2
	s_add_u32 s26, s16, s26
	s_addc_u32 s27, s17, s27
	s_load_dword s26, s[26:27], 0x0
	s_mul_i32 s27, s31, s8
	v_mov_b32_e32 v18, s8
	s_mul_i32 s9, s33, s9
	s_add_i32 s9, s9, s27
	s_waitcnt lgkmcnt(0)
	s_sub_i32 s28, s26, s10
	v_mad_u64_u32 v[18:19], s[26:27], s33, v18, v[12:13]
	v_add_u32_e32 v19, s9, v19
	s_mul_i32 s9, s28, s11
	s_mov_b64 s[26:27], 0
	v_mov_b32_e32 v26, v25
	v_pk_mov_b32 v[20:21], v[14:15], v[14:15] op_sel:[0,1]
	s_branch .LBB101_19
.LBB101_18:                             ;   in Loop: Header=BB101_19 Depth=3
	v_lshlrev_b64 v[22:23], 3, v[22:23]
	v_add_u32_e32 v28, s9, v20
	v_mov_b32_e32 v27, s19
	v_add_co_u32_e32 v22, vcc, s18, v22
	v_ashrrev_i32_e32 v29, 31, v28
	v_addc_co_u32_e32 v23, vcc, v27, v23, vcc
	v_lshlrev_b64 v[28:29], 4, v[28:29]
	v_mov_b32_e32 v27, s21
	v_add_co_u32_e32 v28, vcc, s20, v28
	global_load_dwordx2 v[22:23], v[22:23], off
	v_addc_co_u32_e32 v29, vcc, v27, v29, vcc
	global_load_dwordx4 v[28:31], v[28:29], off
	v_add_co_u32_e32 v20, vcc, 32, v20
	v_addc_co_u32_e32 v21, vcc, 0, v21, vcc
	v_cmp_le_i32_e32 vcc, s11, v20
	s_or_b64 s[26:27], vcc, s[26:27]
	v_add_u32_e32 v26, s38, v26
	s_waitcnt vmcnt(1)
	v_cvt_f64_f32_e32 v[32:33], v22
	v_cvt_f64_f32_e32 v[22:23], v23
	s_waitcnt vmcnt(0)
	v_fmac_f64_e32 v[2:3], v[32:33], v[28:29]
	v_fmac_f64_e32 v[0:1], v[22:23], v[28:29]
	v_fma_f64 v[2:3], -v[22:23], v[30:31], v[2:3]
	v_fmac_f64_e32 v[0:1], v[32:33], v[30:31]
	s_andn2_b64 exec, exec, s[26:27]
	s_cbranch_execz .LBB101_14
.LBB101_19:                             ;   Parent Loop BB101_12 Depth=1
                                        ;     Parent Loop BB101_16 Depth=2
                                        ; =>    This Inner Loop Header: Depth=3
	s_and_b64 vcc, exec, s[6:7]
	s_cbranch_vccz .LBB101_21
; %bb.20:                               ;   in Loop: Header=BB101_19 Depth=3
	v_ashrrev_i32_e32 v23, 31, v26
	v_add_co_u32_e32 v22, vcc, v18, v26
	v_addc_co_u32_e32 v23, vcc, v19, v23, vcc
	s_cbranch_execnz .LBB101_18
	s_branch .LBB101_22
.LBB101_21:                             ;   in Loop: Header=BB101_19 Depth=3
                                        ; implicit-def: $vgpr22_vgpr23
.LBB101_22:                             ;   in Loop: Header=BB101_19 Depth=3
	v_add_co_u32_e32 v22, vcc, v16, v20
	v_addc_co_u32_e32 v23, vcc, v17, v21, vcc
	s_branch .LBB101_18
.LBB101_23:                             ;   in Loop: Header=BB101_12 Depth=1
	s_nop 0
	v_mov_b32_dpp v16, v2 row_shr:1 row_mask:0xf bank_mask:0xf
	v_mov_b32_dpp v17, v3 row_shr:1 row_mask:0xf bank_mask:0xf
	v_mov_b32_dpp v18, v0 row_shr:1 row_mask:0xf bank_mask:0xf
	v_mov_b32_dpp v19, v1 row_shr:1 row_mask:0xf bank_mask:0xf
	v_add_f64 v[2:3], v[2:3], v[16:17]
	v_add_f64 v[0:1], v[0:1], v[18:19]
	s_nop 0
	v_mov_b32_dpp v16, v2 row_shr:2 row_mask:0xf bank_mask:0xf
	v_mov_b32_dpp v17, v3 row_shr:2 row_mask:0xf bank_mask:0xf
	v_mov_b32_dpp v18, v0 row_shr:2 row_mask:0xf bank_mask:0xf
	v_mov_b32_dpp v19, v1 row_shr:2 row_mask:0xf bank_mask:0xf
	v_add_f64 v[2:3], v[2:3], v[16:17]
	v_add_f64 v[0:1], v[0:1], v[18:19]
	;; [unrolled: 7-line block ×4, first 2 shown]
	s_nop 0
	v_mov_b32_dpp v16, v2 row_bcast:15 row_mask:0xa bank_mask:0xf
	v_mov_b32_dpp v17, v3 row_bcast:15 row_mask:0xa bank_mask:0xf
	;; [unrolled: 1-line block ×4, first 2 shown]
	s_and_saveexec_b64 s[8:9], s[2:3]
	s_cbranch_execz .LBB101_11
; %bb.24:                               ;   in Loop: Header=BB101_12 Depth=1
	v_add_f64 v[20:21], v[2:3], v[16:17]
	v_add_f64 v[2:3], v[0:1], v[18:19]
	v_mul_f64 v[0:1], v[2:3], -v[6:7]
	v_mul_f64 v[2:3], v[4:5], v[2:3]
	v_add_u32_e32 v16, s35, v12
	v_fmac_f64_e32 v[0:1], v[4:5], v[20:21]
	v_fmac_f64_e32 v[2:3], v[6:7], v[20:21]
	v_ashrrev_i32_e32 v17, 31, v16
	s_and_saveexec_b64 s[24:25], s[14:15]
	s_xor_b64 s[24:25], exec, s[24:25]
	s_cbranch_execz .LBB101_26
; %bb.25:                               ;   in Loop: Header=BB101_12 Depth=1
	v_lshlrev_b64 v[16:17], 4, v[16:17]
	v_mov_b32_e32 v18, s13
	v_add_co_u32_e32 v16, vcc, s12, v16
	v_addc_co_u32_e32 v17, vcc, v18, v17, vcc
	global_store_dwordx4 v[16:17], v[0:3], off
                                        ; implicit-def: $vgpr16
                                        ; implicit-def: $vgpr0_vgpr1
.LBB101_26:                             ;   in Loop: Header=BB101_12 Depth=1
	s_andn2_saveexec_b64 s[24:25], s[24:25]
	s_cbranch_execz .LBB101_11
; %bb.27:                               ;   in Loop: Header=BB101_12 Depth=1
	v_lshlrev_b64 v[16:17], 4, v[16:17]
	v_mov_b32_e32 v18, s13
	v_add_co_u32_e32 v20, vcc, s12, v16
	v_addc_co_u32_e32 v21, vcc, v18, v17, vcc
	global_load_dwordx4 v[16:19], v[20:21], off
	s_waitcnt vmcnt(0)
	v_fmac_f64_e32 v[0:1], v[8:9], v[16:17]
	v_fmac_f64_e32 v[2:3], v[10:11], v[16:17]
	v_fma_f64 v[0:1], -v[10:11], v[18:19], v[0:1]
	v_fmac_f64_e32 v[2:3], v[8:9], v[18:19]
	global_store_dwordx4 v[20:21], v[0:3], off
	s_branch .LBB101_11
.LBB101_28:
	s_endpgm
	.section	.rodata,"a",@progbits
	.p2align	6, 0x0
	.amdhsa_kernel _ZN9rocsparseL22bsrxmvn_general_kernelILj1024ELj32E21rocsparse_complex_numIdEiiS1_IfES2_S2_EEv20rocsparse_direction_NS_24const_host_device_scalarIT1_EET3_PKS8_PKT2_SD_SA_PKT4_S8_PKT5_S7_PT6_21rocsparse_index_base_b
		.amdhsa_group_segment_fixed_size 16384
		.amdhsa_private_segment_fixed_size 0
		.amdhsa_kernarg_size 120
		.amdhsa_user_sgpr_count 8
		.amdhsa_user_sgpr_private_segment_buffer 1
		.amdhsa_user_sgpr_dispatch_ptr 1
		.amdhsa_user_sgpr_queue_ptr 0
		.amdhsa_user_sgpr_kernarg_segment_ptr 1
		.amdhsa_user_sgpr_dispatch_id 0
		.amdhsa_user_sgpr_flat_scratch_init 0
		.amdhsa_user_sgpr_kernarg_preload_length 0
		.amdhsa_user_sgpr_kernarg_preload_offset 0
		.amdhsa_user_sgpr_private_segment_size 0
		.amdhsa_uses_dynamic_stack 0
		.amdhsa_system_sgpr_private_segment_wavefront_offset 0
		.amdhsa_system_sgpr_workgroup_id_x 1
		.amdhsa_system_sgpr_workgroup_id_y 0
		.amdhsa_system_sgpr_workgroup_id_z 0
		.amdhsa_system_sgpr_workgroup_info 0
		.amdhsa_system_vgpr_workitem_id 2
		.amdhsa_next_free_vgpr 34
		.amdhsa_next_free_sgpr 39
		.amdhsa_accum_offset 36
		.amdhsa_reserve_vcc 1
		.amdhsa_reserve_flat_scratch 0
		.amdhsa_float_round_mode_32 0
		.amdhsa_float_round_mode_16_64 0
		.amdhsa_float_denorm_mode_32 3
		.amdhsa_float_denorm_mode_16_64 3
		.amdhsa_dx10_clamp 1
		.amdhsa_ieee_mode 1
		.amdhsa_fp16_overflow 0
		.amdhsa_tg_split 0
		.amdhsa_exception_fp_ieee_invalid_op 0
		.amdhsa_exception_fp_denorm_src 0
		.amdhsa_exception_fp_ieee_div_zero 0
		.amdhsa_exception_fp_ieee_overflow 0
		.amdhsa_exception_fp_ieee_underflow 0
		.amdhsa_exception_fp_ieee_inexact 0
		.amdhsa_exception_int_div_zero 0
	.end_amdhsa_kernel
	.section	.text._ZN9rocsparseL22bsrxmvn_general_kernelILj1024ELj32E21rocsparse_complex_numIdEiiS1_IfES2_S2_EEv20rocsparse_direction_NS_24const_host_device_scalarIT1_EET3_PKS8_PKT2_SD_SA_PKT4_S8_PKT5_S7_PT6_21rocsparse_index_base_b,"axG",@progbits,_ZN9rocsparseL22bsrxmvn_general_kernelILj1024ELj32E21rocsparse_complex_numIdEiiS1_IfES2_S2_EEv20rocsparse_direction_NS_24const_host_device_scalarIT1_EET3_PKS8_PKT2_SD_SA_PKT4_S8_PKT5_S7_PT6_21rocsparse_index_base_b,comdat
.Lfunc_end101:
	.size	_ZN9rocsparseL22bsrxmvn_general_kernelILj1024ELj32E21rocsparse_complex_numIdEiiS1_IfES2_S2_EEv20rocsparse_direction_NS_24const_host_device_scalarIT1_EET3_PKS8_PKT2_SD_SA_PKT4_S8_PKT5_S7_PT6_21rocsparse_index_base_b, .Lfunc_end101-_ZN9rocsparseL22bsrxmvn_general_kernelILj1024ELj32E21rocsparse_complex_numIdEiiS1_IfES2_S2_EEv20rocsparse_direction_NS_24const_host_device_scalarIT1_EET3_PKS8_PKT2_SD_SA_PKT4_S8_PKT5_S7_PT6_21rocsparse_index_base_b
                                        ; -- End function
	.section	.AMDGPU.csdata,"",@progbits
; Kernel info:
; codeLenInByte = 1460
; NumSgprs: 43
; NumVgprs: 34
; NumAgprs: 0
; TotalNumVgprs: 34
; ScratchSize: 0
; MemoryBound: 0
; FloatMode: 240
; IeeeMode: 1
; LDSByteSize: 16384 bytes/workgroup (compile time only)
; SGPRBlocks: 5
; VGPRBlocks: 4
; NumSGPRsForWavesPerEU: 43
; NumVGPRsForWavesPerEU: 34
; AccumOffset: 36
; Occupancy: 8
; WaveLimiterHint : 1
; COMPUTE_PGM_RSRC2:SCRATCH_EN: 0
; COMPUTE_PGM_RSRC2:USER_SGPR: 8
; COMPUTE_PGM_RSRC2:TRAP_HANDLER: 0
; COMPUTE_PGM_RSRC2:TGID_X_EN: 1
; COMPUTE_PGM_RSRC2:TGID_Y_EN: 0
; COMPUTE_PGM_RSRC2:TGID_Z_EN: 0
; COMPUTE_PGM_RSRC2:TIDIG_COMP_CNT: 2
; COMPUTE_PGM_RSRC3_GFX90A:ACCUM_OFFSET: 8
; COMPUTE_PGM_RSRC3_GFX90A:TG_SPLIT: 0
	.section	.text._ZN9rocsparseL22bsrxmvn_general_kernelILj64ELj8E21rocsparse_complex_numIdEliS1_IfES2_S2_EEv20rocsparse_direction_NS_24const_host_device_scalarIT1_EET3_PKS8_PKT2_SD_SA_PKT4_S8_PKT5_S7_PT6_21rocsparse_index_base_b,"axG",@progbits,_ZN9rocsparseL22bsrxmvn_general_kernelILj64ELj8E21rocsparse_complex_numIdEliS1_IfES2_S2_EEv20rocsparse_direction_NS_24const_host_device_scalarIT1_EET3_PKS8_PKT2_SD_SA_PKT4_S8_PKT5_S7_PT6_21rocsparse_index_base_b,comdat
	.globl	_ZN9rocsparseL22bsrxmvn_general_kernelILj64ELj8E21rocsparse_complex_numIdEliS1_IfES2_S2_EEv20rocsparse_direction_NS_24const_host_device_scalarIT1_EET3_PKS8_PKT2_SD_SA_PKT4_S8_PKT5_S7_PT6_21rocsparse_index_base_b ; -- Begin function _ZN9rocsparseL22bsrxmvn_general_kernelILj64ELj8E21rocsparse_complex_numIdEliS1_IfES2_S2_EEv20rocsparse_direction_NS_24const_host_device_scalarIT1_EET3_PKS8_PKT2_SD_SA_PKT4_S8_PKT5_S7_PT6_21rocsparse_index_base_b
	.p2align	8
	.type	_ZN9rocsparseL22bsrxmvn_general_kernelILj64ELj8E21rocsparse_complex_numIdEliS1_IfES2_S2_EEv20rocsparse_direction_NS_24const_host_device_scalarIT1_EET3_PKS8_PKT2_SD_SA_PKT4_S8_PKT5_S7_PT6_21rocsparse_index_base_b,@function
_ZN9rocsparseL22bsrxmvn_general_kernelILj64ELj8E21rocsparse_complex_numIdEliS1_IfES2_S2_EEv20rocsparse_direction_NS_24const_host_device_scalarIT1_EET3_PKS8_PKT2_SD_SA_PKT4_S8_PKT5_S7_PT6_21rocsparse_index_base_b: ; @_ZN9rocsparseL22bsrxmvn_general_kernelILj64ELj8E21rocsparse_complex_numIdEliS1_IfES2_S2_EEv20rocsparse_direction_NS_24const_host_device_scalarIT1_EET3_PKS8_PKT2_SD_SA_PKT4_S8_PKT5_S7_PT6_21rocsparse_index_base_b
; %bb.0:
	s_load_dwordx2 s[10:11], s[6:7], 0x70
	s_load_dwordx4 s[12:15], s[6:7], 0x8
	s_load_dwordx2 s[20:21], s[4:5], 0x4
	s_load_dwordx4 s[16:19], s[6:7], 0x58
	s_mov_b64 s[2:3], src_shared_base
	v_bfe_u32 v2, v0, 10, 10
	s_waitcnt lgkmcnt(0)
	s_bitcmp1_b32 s11, 0
	s_cselect_b64 s[0:1], -1, 0
	s_and_b64 vcc, s[0:1], exec
	s_cselect_b32 s2, s3, s13
	s_lshr_b32 s4, s20, 16
	v_and_b32_e32 v1, 0x3ff, v0
	s_mul_i32 s4, s4, s21
	v_mul_u32_u24_e32 v2, s21, v2
	v_mad_u32_u24 v2, s4, v1, v2
	v_bfe_u32 v0, v0, 20, 10
	v_add_lshl_u32 v0, v2, v0, 3
	v_mov_b32_e32 v6, s12
	v_add_u32_e32 v7, 0x200, v0
	v_pk_mov_b32 v[2:3], s[12:13], s[12:13] op_sel:[0,1]
	v_pk_mov_b32 v[4:5], s[16:17], s[16:17] op_sel:[0,1]
	ds_write2st64_b64 v0, v[4:5], v[2:3] offset1:1
	v_cndmask_b32_e64 v2, v6, v7, s[0:1]
	v_mov_b32_e32 v3, s2
	flat_load_dwordx2 v[4:5], v[2:3]
	s_xor_b64 s[4:5], s[0:1], -1
	v_pk_mov_b32 v[6:7], s[14:15], s[14:15] op_sel:[0,1]
	s_cbranch_vccnz .LBB102_2
; %bb.1:
	v_pk_mov_b32 v[2:3], s[12:13], s[12:13] op_sel:[0,1]
	flat_load_dwordx2 v[6:7], v[2:3] offset:8
.LBB102_2:
	s_and_b64 s[12:13], s[0:1], exec
	s_cselect_b32 s2, s3, s17
	v_mov_b32_e32 v2, s16
	v_cndmask_b32_e64 v2, v2, v0, s[0:1]
	v_mov_b32_e32 v3, s2
	flat_load_dwordx2 v[8:9], v[2:3]
	s_andn2_b64 vcc, exec, s[4:5]
	v_pk_mov_b32 v[10:11], s[18:19], s[18:19] op_sel:[0,1]
	s_cbranch_vccnz .LBB102_4
; %bb.3:
	v_pk_mov_b32 v[2:3], s[16:17], s[16:17] op_sel:[0,1]
	flat_load_dwordx2 v[10:11], v[2:3] offset:8
.LBB102_4:
	s_waitcnt vmcnt(0) lgkmcnt(0)
	v_cmp_eq_f64_e32 vcc, 0, v[4:5]
	v_cmp_eq_f64_e64 s[0:1], 0, v[6:7]
	s_and_b64 s[4:5], vcc, s[0:1]
	s_mov_b64 s[0:1], -1
	s_and_saveexec_b64 s[2:3], s[4:5]
; %bb.5:
	v_cmp_neq_f64_e32 vcc, 1.0, v[8:9]
	v_cmp_neq_f64_e64 s[0:1], 0, v[10:11]
	s_or_b64 s[0:1], vcc, s[0:1]
	s_orn2_b64 s[0:1], s[0:1], exec
; %bb.6:
	s_or_b64 exec, exec, s[2:3]
	s_and_saveexec_b64 s[2:3], s[0:1]
	s_cbranch_execz .LBB102_28
; %bb.7:
	s_load_dwordx2 s[0:1], s[6:7], 0x20
	s_waitcnt lgkmcnt(0)
	s_cmp_eq_u64 s[0:1], 0
	s_cbranch_scc1 .LBB102_9
; %bb.8:
	s_ashr_i32 s9, s8, 31
	s_lshl_b64 s[2:3], s[8:9], 2
	s_add_u32 s0, s0, s2
	s_addc_u32 s1, s1, s3
	s_load_dword s0, s[0:1], 0x0
	s_waitcnt lgkmcnt(0)
	s_sub_i32 s8, s0, s10
.LBB102_9:
	s_load_dword s11, s[6:7], 0x48
	v_lshrrev_b32_e32 v12, 3, v1
	s_waitcnt lgkmcnt(0)
	v_cmp_gt_i32_e32 vcc, s11, v12
	s_and_b64 exec, exec, vcc
	s_cbranch_execz .LBB102_28
; %bb.10:
	s_load_dwordx8 s[12:19], s[6:7], 0x28
	s_ashr_i32 s9, s8, 31
	s_lshl_b64 s[0:1], s[8:9], 3
	v_and_b32_e32 v14, 7, v1
	s_mul_hi_u32 s33, s11, s11
	s_waitcnt lgkmcnt(0)
	s_add_u32 s2, s12, s0
	s_addc_u32 s3, s13, s1
	s_load_dwordx2 s[28:29], s[2:3], 0x0
	s_load_dwordx2 s[12:13], s[6:7], 0x68
	s_load_dwordx2 s[20:21], s[6:7], 0x50
	s_mul_i32 s36, s11, s11
	v_cmp_eq_f64_e32 vcc, 0, v[8:9]
	s_waitcnt lgkmcnt(0)
	s_sub_u32 s24, s28, s10
	s_subb_u32 s25, s29, 0
	s_add_u32 s2, s2, 8
	s_addc_u32 s3, s3, 0
	s_add_u32 s0, s14, s0
	s_addc_u32 s1, s15, s1
	s_cmp_eq_u64 s[14:15], 0
	s_cselect_b32 s1, s3, s1
	s_cselect_b32 s0, s2, s0
	s_load_dwordx2 s[2:3], s[0:1], 0x0
	s_load_dword s4, s[6:7], 0x0
	s_mov_b64 s[22:23], 0
	v_cmp_gt_u32_e64 s[0:1], s11, v14
	s_mul_i32 s37, s8, s11
	s_waitcnt lgkmcnt(0)
	s_sub_u32 s6, s2, s10
	s_subb_u32 s7, s3, 0
	v_pk_mov_b32 v[0:1], s[2:3], s[2:3] op_sel:[0,1]
	s_cmp_lg_u32 s4, 0
	v_cmp_eq_f64_e64 s[4:5], 0, v[10:11]
	s_cselect_b64 s[14:15], -1, 0
	s_and_b64 s[26:27], vcc, s[4:5]
	s_mul_i32 s4, s24, s33
	s_mul_hi_u32 s5, s24, s36
	v_cmp_lt_i64_e32 vcc, s[28:29], v[0:1]
	s_add_i32 s4, s5, s4
	s_mul_i32 s5, s25, s36
	v_cndmask_b32_e64 v0, 0, 1, vcc
	v_cmp_eq_u32_e64 s[2:3], 7, v14
	s_add_i32 s38, s4, s5
	s_mul_i32 s39, s24, s36
	v_mul_lo_u32 v24, s11, v12
	s_lshl_b32 s40, s11, 3
	v_mov_b32_e32 v15, 0
	v_mul_lo_u32 v25, s11, v14
	v_cmp_ne_u32_e64 s[4:5], 1, v0
	s_branch .LBB102_12
.LBB102_11:                             ;   in Loop: Header=BB102_12 Depth=1
	s_or_b64 exec, exec, s[8:9]
	v_add_u32_e32 v12, 8, v12
	v_cmp_le_i32_e32 vcc, s11, v12
	s_or_b64 s[22:23], vcc, s[22:23]
	v_add_u32_e32 v24, s40, v24
	s_andn2_b64 exec, exec, s[22:23]
	s_cbranch_execz .LBB102_28
.LBB102_12:                             ; =>This Loop Header: Depth=1
                                        ;     Child Loop BB102_16 Depth 2
                                        ;       Child Loop BB102_19 Depth 3
	v_pk_mov_b32 v[0:1], 0, 0
	s_and_b64 vcc, exec, s[4:5]
	v_pk_mov_b32 v[2:3], v[0:1], v[0:1] op_sel:[0,1]
	s_cbranch_vccnz .LBB102_23
; %bb.13:                               ;   in Loop: Header=BB102_12 Depth=1
	v_ashrrev_i32_e32 v0, 31, v24
	v_mov_b32_e32 v1, s38
	v_add_co_u32_e32 v16, vcc, s39, v24
	v_addc_co_u32_e32 v17, vcc, v1, v0, vcc
	v_pk_mov_b32 v[0:1], 0, 0
	v_ashrrev_i32_e32 v13, 31, v12
	s_mov_b64 s[8:9], s[24:25]
	v_pk_mov_b32 v[2:3], v[0:1], v[0:1] op_sel:[0,1]
	s_branch .LBB102_16
.LBB102_14:                             ;   in Loop: Header=BB102_16 Depth=2
	s_or_b64 exec, exec, s[30:31]
.LBB102_15:                             ;   in Loop: Header=BB102_16 Depth=2
	s_or_b64 exec, exec, s[28:29]
	s_add_u32 s8, s8, 1
	v_mov_b32_e32 v18, s33
	v_add_co_u32_e32 v16, vcc, s36, v16
	s_addc_u32 s9, s9, 0
	v_addc_co_u32_e32 v17, vcc, v17, v18, vcc
	v_pk_mov_b32 v[18:19], s[6:7], s[6:7] op_sel:[0,1]
	v_cmp_ge_i64_e32 vcc, s[8:9], v[18:19]
	s_cbranch_vccnz .LBB102_23
.LBB102_16:                             ;   Parent Loop BB102_12 Depth=1
                                        ; =>  This Loop Header: Depth=2
                                        ;       Child Loop BB102_19 Depth 3
	s_and_saveexec_b64 s[28:29], s[0:1]
	s_cbranch_execz .LBB102_15
; %bb.17:                               ;   in Loop: Header=BB102_16 Depth=2
	s_lshl_b64 s[30:31], s[8:9], 2
	s_add_u32 s30, s16, s30
	s_addc_u32 s31, s17, s31
	s_load_dword s30, s[30:31], 0x0
	s_mul_i32 s31, s33, s8
	s_mul_i32 s34, s36, s9
	v_mov_b32_e32 v18, s8
	s_add_i32 s34, s34, s31
	s_waitcnt lgkmcnt(0)
	s_sub_i32 s35, s30, s10
	v_mad_u64_u32 v[18:19], s[30:31], s36, v18, v[12:13]
	v_add_u32_e32 v19, s34, v19
	s_mul_i32 s41, s35, s11
	s_mov_b64 s[30:31], 0
	v_mov_b32_e32 v26, v25
	v_pk_mov_b32 v[20:21], v[14:15], v[14:15] op_sel:[0,1]
	s_branch .LBB102_19
.LBB102_18:                             ;   in Loop: Header=BB102_19 Depth=3
	v_lshlrev_b64 v[22:23], 3, v[22:23]
	v_add_u32_e32 v28, s41, v20
	v_mov_b32_e32 v27, s19
	v_add_co_u32_e32 v22, vcc, s18, v22
	v_ashrrev_i32_e32 v29, 31, v28
	v_addc_co_u32_e32 v23, vcc, v27, v23, vcc
	v_lshlrev_b64 v[28:29], 4, v[28:29]
	v_mov_b32_e32 v27, s21
	v_add_co_u32_e32 v28, vcc, s20, v28
	global_load_dwordx2 v[22:23], v[22:23], off
	v_addc_co_u32_e32 v29, vcc, v27, v29, vcc
	global_load_dwordx4 v[28:31], v[28:29], off
	v_add_co_u32_e32 v20, vcc, 8, v20
	v_addc_co_u32_e32 v21, vcc, 0, v21, vcc
	v_cmp_le_i32_e32 vcc, s11, v20
	s_or_b64 s[30:31], vcc, s[30:31]
	v_add_u32_e32 v26, s40, v26
	s_waitcnt vmcnt(1)
	v_cvt_f64_f32_e32 v[32:33], v22
	v_cvt_f64_f32_e32 v[22:23], v23
	s_waitcnt vmcnt(0)
	v_fmac_f64_e32 v[2:3], v[32:33], v[28:29]
	v_fmac_f64_e32 v[0:1], v[22:23], v[28:29]
	v_fma_f64 v[2:3], -v[22:23], v[30:31], v[2:3]
	v_fmac_f64_e32 v[0:1], v[32:33], v[30:31]
	s_andn2_b64 exec, exec, s[30:31]
	s_cbranch_execz .LBB102_14
.LBB102_19:                             ;   Parent Loop BB102_12 Depth=1
                                        ;     Parent Loop BB102_16 Depth=2
                                        ; =>    This Inner Loop Header: Depth=3
	s_and_b64 vcc, exec, s[14:15]
	s_cbranch_vccz .LBB102_21
; %bb.20:                               ;   in Loop: Header=BB102_19 Depth=3
	v_ashrrev_i32_e32 v23, 31, v26
	v_add_co_u32_e32 v22, vcc, v18, v26
	v_addc_co_u32_e32 v23, vcc, v19, v23, vcc
	s_cbranch_execnz .LBB102_18
	s_branch .LBB102_22
.LBB102_21:                             ;   in Loop: Header=BB102_19 Depth=3
                                        ; implicit-def: $vgpr22_vgpr23
.LBB102_22:                             ;   in Loop: Header=BB102_19 Depth=3
	v_add_co_u32_e32 v22, vcc, v16, v20
	v_addc_co_u32_e32 v23, vcc, v17, v21, vcc
	s_branch .LBB102_18
.LBB102_23:                             ;   in Loop: Header=BB102_12 Depth=1
	s_nop 0
	v_mov_b32_dpp v16, v2 row_shr:1 row_mask:0xf bank_mask:0xf
	v_mov_b32_dpp v17, v3 row_shr:1 row_mask:0xf bank_mask:0xf
	;; [unrolled: 1-line block ×4, first 2 shown]
	v_add_f64 v[2:3], v[2:3], v[16:17]
	v_add_f64 v[0:1], v[0:1], v[18:19]
	s_nop 0
	v_mov_b32_dpp v16, v2 row_shr:2 row_mask:0xf bank_mask:0xf
	v_mov_b32_dpp v17, v3 row_shr:2 row_mask:0xf bank_mask:0xf
	v_mov_b32_dpp v18, v0 row_shr:2 row_mask:0xf bank_mask:0xf
	v_mov_b32_dpp v19, v1 row_shr:2 row_mask:0xf bank_mask:0xf
	v_add_f64 v[2:3], v[2:3], v[16:17]
	v_add_f64 v[0:1], v[0:1], v[18:19]
	s_nop 0
	v_mov_b32_dpp v16, v2 row_shr:4 row_mask:0xf bank_mask:0xe
	v_mov_b32_dpp v17, v3 row_shr:4 row_mask:0xf bank_mask:0xe
	v_mov_b32_dpp v18, v0 row_shr:4 row_mask:0xf bank_mask:0xe
	v_mov_b32_dpp v19, v1 row_shr:4 row_mask:0xf bank_mask:0xe
	s_and_saveexec_b64 s[8:9], s[2:3]
	s_cbranch_execz .LBB102_11
; %bb.24:                               ;   in Loop: Header=BB102_12 Depth=1
	v_add_f64 v[20:21], v[2:3], v[16:17]
	v_add_f64 v[2:3], v[0:1], v[18:19]
	v_mul_f64 v[0:1], v[2:3], -v[6:7]
	v_mul_f64 v[2:3], v[4:5], v[2:3]
	v_add_u32_e32 v16, s37, v12
	v_fmac_f64_e32 v[0:1], v[4:5], v[20:21]
	v_fmac_f64_e32 v[2:3], v[6:7], v[20:21]
	v_ashrrev_i32_e32 v17, 31, v16
	s_and_saveexec_b64 s[28:29], s[26:27]
	s_xor_b64 s[28:29], exec, s[28:29]
	s_cbranch_execz .LBB102_26
; %bb.25:                               ;   in Loop: Header=BB102_12 Depth=1
	v_lshlrev_b64 v[16:17], 4, v[16:17]
	v_mov_b32_e32 v13, s13
	v_add_co_u32_e32 v16, vcc, s12, v16
	v_addc_co_u32_e32 v17, vcc, v13, v17, vcc
	global_store_dwordx4 v[16:17], v[0:3], off
                                        ; implicit-def: $vgpr16
                                        ; implicit-def: $vgpr0_vgpr1
.LBB102_26:                             ;   in Loop: Header=BB102_12 Depth=1
	s_andn2_saveexec_b64 s[28:29], s[28:29]
	s_cbranch_execz .LBB102_11
; %bb.27:                               ;   in Loop: Header=BB102_12 Depth=1
	v_lshlrev_b64 v[16:17], 4, v[16:17]
	v_mov_b32_e32 v13, s13
	v_add_co_u32_e32 v20, vcc, s12, v16
	v_addc_co_u32_e32 v21, vcc, v13, v17, vcc
	global_load_dwordx4 v[16:19], v[20:21], off
	s_waitcnt vmcnt(0)
	v_fmac_f64_e32 v[0:1], v[8:9], v[16:17]
	v_fmac_f64_e32 v[2:3], v[10:11], v[16:17]
	v_fma_f64 v[0:1], -v[10:11], v[18:19], v[0:1]
	v_fmac_f64_e32 v[2:3], v[8:9], v[18:19]
	global_store_dwordx4 v[20:21], v[0:3], off
	s_branch .LBB102_11
.LBB102_28:
	s_endpgm
	.section	.rodata,"a",@progbits
	.p2align	6, 0x0
	.amdhsa_kernel _ZN9rocsparseL22bsrxmvn_general_kernelILj64ELj8E21rocsparse_complex_numIdEliS1_IfES2_S2_EEv20rocsparse_direction_NS_24const_host_device_scalarIT1_EET3_PKS8_PKT2_SD_SA_PKT4_S8_PKT5_S7_PT6_21rocsparse_index_base_b
		.amdhsa_group_segment_fixed_size 1024
		.amdhsa_private_segment_fixed_size 0
		.amdhsa_kernarg_size 120
		.amdhsa_user_sgpr_count 8
		.amdhsa_user_sgpr_private_segment_buffer 1
		.amdhsa_user_sgpr_dispatch_ptr 1
		.amdhsa_user_sgpr_queue_ptr 0
		.amdhsa_user_sgpr_kernarg_segment_ptr 1
		.amdhsa_user_sgpr_dispatch_id 0
		.amdhsa_user_sgpr_flat_scratch_init 0
		.amdhsa_user_sgpr_kernarg_preload_length 0
		.amdhsa_user_sgpr_kernarg_preload_offset 0
		.amdhsa_user_sgpr_private_segment_size 0
		.amdhsa_uses_dynamic_stack 0
		.amdhsa_system_sgpr_private_segment_wavefront_offset 0
		.amdhsa_system_sgpr_workgroup_id_x 1
		.amdhsa_system_sgpr_workgroup_id_y 0
		.amdhsa_system_sgpr_workgroup_id_z 0
		.amdhsa_system_sgpr_workgroup_info 0
		.amdhsa_system_vgpr_workitem_id 2
		.amdhsa_next_free_vgpr 34
		.amdhsa_next_free_sgpr 42
		.amdhsa_accum_offset 36
		.amdhsa_reserve_vcc 1
		.amdhsa_reserve_flat_scratch 0
		.amdhsa_float_round_mode_32 0
		.amdhsa_float_round_mode_16_64 0
		.amdhsa_float_denorm_mode_32 3
		.amdhsa_float_denorm_mode_16_64 3
		.amdhsa_dx10_clamp 1
		.amdhsa_ieee_mode 1
		.amdhsa_fp16_overflow 0
		.amdhsa_tg_split 0
		.amdhsa_exception_fp_ieee_invalid_op 0
		.amdhsa_exception_fp_denorm_src 0
		.amdhsa_exception_fp_ieee_div_zero 0
		.amdhsa_exception_fp_ieee_overflow 0
		.amdhsa_exception_fp_ieee_underflow 0
		.amdhsa_exception_fp_ieee_inexact 0
		.amdhsa_exception_int_div_zero 0
	.end_amdhsa_kernel
	.section	.text._ZN9rocsparseL22bsrxmvn_general_kernelILj64ELj8E21rocsparse_complex_numIdEliS1_IfES2_S2_EEv20rocsparse_direction_NS_24const_host_device_scalarIT1_EET3_PKS8_PKT2_SD_SA_PKT4_S8_PKT5_S7_PT6_21rocsparse_index_base_b,"axG",@progbits,_ZN9rocsparseL22bsrxmvn_general_kernelILj64ELj8E21rocsparse_complex_numIdEliS1_IfES2_S2_EEv20rocsparse_direction_NS_24const_host_device_scalarIT1_EET3_PKS8_PKT2_SD_SA_PKT4_S8_PKT5_S7_PT6_21rocsparse_index_base_b,comdat
.Lfunc_end102:
	.size	_ZN9rocsparseL22bsrxmvn_general_kernelILj64ELj8E21rocsparse_complex_numIdEliS1_IfES2_S2_EEv20rocsparse_direction_NS_24const_host_device_scalarIT1_EET3_PKS8_PKT2_SD_SA_PKT4_S8_PKT5_S7_PT6_21rocsparse_index_base_b, .Lfunc_end102-_ZN9rocsparseL22bsrxmvn_general_kernelILj64ELj8E21rocsparse_complex_numIdEliS1_IfES2_S2_EEv20rocsparse_direction_NS_24const_host_device_scalarIT1_EET3_PKS8_PKT2_SD_SA_PKT4_S8_PKT5_S7_PT6_21rocsparse_index_base_b
                                        ; -- End function
	.section	.AMDGPU.csdata,"",@progbits
; Kernel info:
; codeLenInByte = 1368
; NumSgprs: 46
; NumVgprs: 34
; NumAgprs: 0
; TotalNumVgprs: 34
; ScratchSize: 0
; MemoryBound: 0
; FloatMode: 240
; IeeeMode: 1
; LDSByteSize: 1024 bytes/workgroup (compile time only)
; SGPRBlocks: 5
; VGPRBlocks: 4
; NumSGPRsForWavesPerEU: 46
; NumVGPRsForWavesPerEU: 34
; AccumOffset: 36
; Occupancy: 8
; WaveLimiterHint : 1
; COMPUTE_PGM_RSRC2:SCRATCH_EN: 0
; COMPUTE_PGM_RSRC2:USER_SGPR: 8
; COMPUTE_PGM_RSRC2:TRAP_HANDLER: 0
; COMPUTE_PGM_RSRC2:TGID_X_EN: 1
; COMPUTE_PGM_RSRC2:TGID_Y_EN: 0
; COMPUTE_PGM_RSRC2:TGID_Z_EN: 0
; COMPUTE_PGM_RSRC2:TIDIG_COMP_CNT: 2
; COMPUTE_PGM_RSRC3_GFX90A:ACCUM_OFFSET: 8
; COMPUTE_PGM_RSRC3_GFX90A:TG_SPLIT: 0
	.section	.text._ZN9rocsparseL22bsrxmvn_general_kernelILj256ELj16E21rocsparse_complex_numIdEliS1_IfES2_S2_EEv20rocsparse_direction_NS_24const_host_device_scalarIT1_EET3_PKS8_PKT2_SD_SA_PKT4_S8_PKT5_S7_PT6_21rocsparse_index_base_b,"axG",@progbits,_ZN9rocsparseL22bsrxmvn_general_kernelILj256ELj16E21rocsparse_complex_numIdEliS1_IfES2_S2_EEv20rocsparse_direction_NS_24const_host_device_scalarIT1_EET3_PKS8_PKT2_SD_SA_PKT4_S8_PKT5_S7_PT6_21rocsparse_index_base_b,comdat
	.globl	_ZN9rocsparseL22bsrxmvn_general_kernelILj256ELj16E21rocsparse_complex_numIdEliS1_IfES2_S2_EEv20rocsparse_direction_NS_24const_host_device_scalarIT1_EET3_PKS8_PKT2_SD_SA_PKT4_S8_PKT5_S7_PT6_21rocsparse_index_base_b ; -- Begin function _ZN9rocsparseL22bsrxmvn_general_kernelILj256ELj16E21rocsparse_complex_numIdEliS1_IfES2_S2_EEv20rocsparse_direction_NS_24const_host_device_scalarIT1_EET3_PKS8_PKT2_SD_SA_PKT4_S8_PKT5_S7_PT6_21rocsparse_index_base_b
	.p2align	8
	.type	_ZN9rocsparseL22bsrxmvn_general_kernelILj256ELj16E21rocsparse_complex_numIdEliS1_IfES2_S2_EEv20rocsparse_direction_NS_24const_host_device_scalarIT1_EET3_PKS8_PKT2_SD_SA_PKT4_S8_PKT5_S7_PT6_21rocsparse_index_base_b,@function
_ZN9rocsparseL22bsrxmvn_general_kernelILj256ELj16E21rocsparse_complex_numIdEliS1_IfES2_S2_EEv20rocsparse_direction_NS_24const_host_device_scalarIT1_EET3_PKS8_PKT2_SD_SA_PKT4_S8_PKT5_S7_PT6_21rocsparse_index_base_b: ; @_ZN9rocsparseL22bsrxmvn_general_kernelILj256ELj16E21rocsparse_complex_numIdEliS1_IfES2_S2_EEv20rocsparse_direction_NS_24const_host_device_scalarIT1_EET3_PKS8_PKT2_SD_SA_PKT4_S8_PKT5_S7_PT6_21rocsparse_index_base_b
; %bb.0:
	s_load_dwordx2 s[10:11], s[6:7], 0x70
	s_load_dwordx4 s[12:15], s[6:7], 0x8
	s_load_dwordx2 s[20:21], s[4:5], 0x4
	s_load_dwordx4 s[16:19], s[6:7], 0x58
	s_mov_b64 s[2:3], src_shared_base
	v_and_b32_e32 v1, 0x3ff, v0
	s_waitcnt lgkmcnt(0)
	s_bitcmp1_b32 s11, 0
	s_cselect_b64 s[0:1], -1, 0
	s_and_b64 vcc, s[0:1], exec
	s_cselect_b32 s2, s3, s13
	s_lshr_b32 s4, s20, 16
	s_mul_i32 s4, s4, s21
	v_mul_lo_u32 v2, s4, v1
	v_bfe_u32 v3, v0, 10, 10
	v_mad_u32_u24 v2, v3, s21, v2
	v_bfe_u32 v0, v0, 20, 10
	v_add_lshl_u32 v0, v2, v0, 3
	v_mov_b32_e32 v6, s12
	v_add_u32_e32 v7, 0x800, v0
	v_pk_mov_b32 v[2:3], s[12:13], s[12:13] op_sel:[0,1]
	v_pk_mov_b32 v[4:5], s[16:17], s[16:17] op_sel:[0,1]
	ds_write2st64_b64 v0, v[4:5], v[2:3] offset1:4
	v_cndmask_b32_e64 v2, v6, v7, s[0:1]
	v_mov_b32_e32 v3, s2
	flat_load_dwordx2 v[4:5], v[2:3]
	s_xor_b64 s[4:5], s[0:1], -1
	v_pk_mov_b32 v[6:7], s[14:15], s[14:15] op_sel:[0,1]
	s_cbranch_vccnz .LBB103_2
; %bb.1:
	v_pk_mov_b32 v[2:3], s[12:13], s[12:13] op_sel:[0,1]
	flat_load_dwordx2 v[6:7], v[2:3] offset:8
.LBB103_2:
	s_and_b64 s[12:13], s[0:1], exec
	s_cselect_b32 s2, s3, s17
	v_mov_b32_e32 v2, s16
	v_cndmask_b32_e64 v2, v2, v0, s[0:1]
	v_mov_b32_e32 v3, s2
	flat_load_dwordx2 v[8:9], v[2:3]
	s_andn2_b64 vcc, exec, s[4:5]
	v_pk_mov_b32 v[10:11], s[18:19], s[18:19] op_sel:[0,1]
	s_cbranch_vccnz .LBB103_4
; %bb.3:
	v_pk_mov_b32 v[2:3], s[16:17], s[16:17] op_sel:[0,1]
	flat_load_dwordx2 v[10:11], v[2:3] offset:8
.LBB103_4:
	s_waitcnt vmcnt(0) lgkmcnt(0)
	v_cmp_eq_f64_e32 vcc, 0, v[4:5]
	v_cmp_eq_f64_e64 s[0:1], 0, v[6:7]
	s_and_b64 s[4:5], vcc, s[0:1]
	s_mov_b64 s[0:1], -1
	s_and_saveexec_b64 s[2:3], s[4:5]
; %bb.5:
	v_cmp_neq_f64_e32 vcc, 1.0, v[8:9]
	v_cmp_neq_f64_e64 s[0:1], 0, v[10:11]
	s_or_b64 s[0:1], vcc, s[0:1]
	s_orn2_b64 s[0:1], s[0:1], exec
; %bb.6:
	s_or_b64 exec, exec, s[2:3]
	s_and_saveexec_b64 s[2:3], s[0:1]
	s_cbranch_execz .LBB103_28
; %bb.7:
	s_load_dwordx2 s[0:1], s[6:7], 0x20
	s_waitcnt lgkmcnt(0)
	s_cmp_eq_u64 s[0:1], 0
	s_cbranch_scc1 .LBB103_9
; %bb.8:
	s_ashr_i32 s9, s8, 31
	s_lshl_b64 s[2:3], s[8:9], 2
	s_add_u32 s0, s0, s2
	s_addc_u32 s1, s1, s3
	s_load_dword s0, s[0:1], 0x0
	s_waitcnt lgkmcnt(0)
	s_sub_i32 s8, s0, s10
.LBB103_9:
	s_load_dword s11, s[6:7], 0x48
	v_lshrrev_b32_e32 v12, 4, v1
	s_waitcnt lgkmcnt(0)
	v_cmp_gt_i32_e32 vcc, s11, v12
	s_and_b64 exec, exec, vcc
	s_cbranch_execz .LBB103_28
; %bb.10:
	s_load_dwordx8 s[12:19], s[6:7], 0x28
	s_ashr_i32 s9, s8, 31
	s_lshl_b64 s[0:1], s[8:9], 3
	v_and_b32_e32 v14, 15, v1
	s_mul_hi_u32 s33, s11, s11
	s_waitcnt lgkmcnt(0)
	s_add_u32 s2, s12, s0
	s_addc_u32 s3, s13, s1
	s_load_dwordx2 s[28:29], s[2:3], 0x0
	s_load_dwordx2 s[12:13], s[6:7], 0x68
	;; [unrolled: 1-line block ×3, first 2 shown]
	s_mul_i32 s36, s11, s11
	v_cmp_eq_f64_e32 vcc, 0, v[8:9]
	s_waitcnt lgkmcnt(0)
	s_sub_u32 s24, s28, s10
	s_subb_u32 s25, s29, 0
	s_add_u32 s2, s2, 8
	s_addc_u32 s3, s3, 0
	s_add_u32 s0, s14, s0
	s_addc_u32 s1, s15, s1
	s_cmp_eq_u64 s[14:15], 0
	s_cselect_b32 s1, s3, s1
	s_cselect_b32 s0, s2, s0
	s_load_dwordx2 s[2:3], s[0:1], 0x0
	s_load_dword s4, s[6:7], 0x0
	s_mov_b64 s[22:23], 0
	v_cmp_gt_u32_e64 s[0:1], s11, v14
	s_mul_i32 s37, s8, s11
	s_waitcnt lgkmcnt(0)
	s_sub_u32 s6, s2, s10
	s_subb_u32 s7, s3, 0
	v_pk_mov_b32 v[0:1], s[2:3], s[2:3] op_sel:[0,1]
	s_cmp_lg_u32 s4, 0
	v_cmp_eq_f64_e64 s[4:5], 0, v[10:11]
	s_cselect_b64 s[14:15], -1, 0
	s_and_b64 s[26:27], vcc, s[4:5]
	s_mul_i32 s4, s24, s33
	s_mul_hi_u32 s5, s24, s36
	v_cmp_lt_i64_e32 vcc, s[28:29], v[0:1]
	s_add_i32 s4, s5, s4
	s_mul_i32 s5, s25, s36
	v_cndmask_b32_e64 v0, 0, 1, vcc
	v_cmp_eq_u32_e64 s[2:3], 15, v14
	s_add_i32 s38, s4, s5
	s_mul_i32 s39, s24, s36
	v_mul_lo_u32 v24, s11, v12
	s_lshl_b32 s40, s11, 4
	v_mov_b32_e32 v15, 0
	v_mul_lo_u32 v25, s11, v14
	v_cmp_ne_u32_e64 s[4:5], 1, v0
	s_branch .LBB103_12
.LBB103_11:                             ;   in Loop: Header=BB103_12 Depth=1
	s_or_b64 exec, exec, s[8:9]
	v_add_u32_e32 v12, 16, v12
	v_cmp_le_i32_e32 vcc, s11, v12
	s_or_b64 s[22:23], vcc, s[22:23]
	v_add_u32_e32 v24, s40, v24
	s_andn2_b64 exec, exec, s[22:23]
	s_cbranch_execz .LBB103_28
.LBB103_12:                             ; =>This Loop Header: Depth=1
                                        ;     Child Loop BB103_16 Depth 2
                                        ;       Child Loop BB103_19 Depth 3
	v_pk_mov_b32 v[0:1], 0, 0
	s_and_b64 vcc, exec, s[4:5]
	v_pk_mov_b32 v[2:3], v[0:1], v[0:1] op_sel:[0,1]
	s_cbranch_vccnz .LBB103_23
; %bb.13:                               ;   in Loop: Header=BB103_12 Depth=1
	v_ashrrev_i32_e32 v0, 31, v24
	v_mov_b32_e32 v1, s38
	v_add_co_u32_e32 v16, vcc, s39, v24
	v_addc_co_u32_e32 v17, vcc, v1, v0, vcc
	v_pk_mov_b32 v[0:1], 0, 0
	v_ashrrev_i32_e32 v13, 31, v12
	s_mov_b64 s[8:9], s[24:25]
	v_pk_mov_b32 v[2:3], v[0:1], v[0:1] op_sel:[0,1]
	s_branch .LBB103_16
.LBB103_14:                             ;   in Loop: Header=BB103_16 Depth=2
	s_or_b64 exec, exec, s[30:31]
.LBB103_15:                             ;   in Loop: Header=BB103_16 Depth=2
	s_or_b64 exec, exec, s[28:29]
	s_add_u32 s8, s8, 1
	v_mov_b32_e32 v18, s33
	v_add_co_u32_e32 v16, vcc, s36, v16
	s_addc_u32 s9, s9, 0
	v_addc_co_u32_e32 v17, vcc, v17, v18, vcc
	v_pk_mov_b32 v[18:19], s[6:7], s[6:7] op_sel:[0,1]
	v_cmp_ge_i64_e32 vcc, s[8:9], v[18:19]
	s_cbranch_vccnz .LBB103_23
.LBB103_16:                             ;   Parent Loop BB103_12 Depth=1
                                        ; =>  This Loop Header: Depth=2
                                        ;       Child Loop BB103_19 Depth 3
	s_and_saveexec_b64 s[28:29], s[0:1]
	s_cbranch_execz .LBB103_15
; %bb.17:                               ;   in Loop: Header=BB103_16 Depth=2
	s_lshl_b64 s[30:31], s[8:9], 2
	s_add_u32 s30, s16, s30
	s_addc_u32 s31, s17, s31
	s_load_dword s30, s[30:31], 0x0
	s_mul_i32 s31, s33, s8
	s_mul_i32 s34, s36, s9
	v_mov_b32_e32 v18, s8
	s_add_i32 s34, s34, s31
	s_waitcnt lgkmcnt(0)
	s_sub_i32 s35, s30, s10
	v_mad_u64_u32 v[18:19], s[30:31], s36, v18, v[12:13]
	v_add_u32_e32 v19, s34, v19
	s_mul_i32 s41, s35, s11
	s_mov_b64 s[30:31], 0
	v_mov_b32_e32 v26, v25
	v_pk_mov_b32 v[20:21], v[14:15], v[14:15] op_sel:[0,1]
	s_branch .LBB103_19
.LBB103_18:                             ;   in Loop: Header=BB103_19 Depth=3
	v_lshlrev_b64 v[22:23], 3, v[22:23]
	v_add_u32_e32 v28, s41, v20
	v_mov_b32_e32 v27, s19
	v_add_co_u32_e32 v22, vcc, s18, v22
	v_ashrrev_i32_e32 v29, 31, v28
	v_addc_co_u32_e32 v23, vcc, v27, v23, vcc
	v_lshlrev_b64 v[28:29], 4, v[28:29]
	v_mov_b32_e32 v27, s21
	v_add_co_u32_e32 v28, vcc, s20, v28
	global_load_dwordx2 v[22:23], v[22:23], off
	v_addc_co_u32_e32 v29, vcc, v27, v29, vcc
	global_load_dwordx4 v[28:31], v[28:29], off
	v_add_co_u32_e32 v20, vcc, 16, v20
	v_addc_co_u32_e32 v21, vcc, 0, v21, vcc
	v_cmp_le_i32_e32 vcc, s11, v20
	s_or_b64 s[30:31], vcc, s[30:31]
	v_add_u32_e32 v26, s40, v26
	s_waitcnt vmcnt(1)
	v_cvt_f64_f32_e32 v[32:33], v22
	v_cvt_f64_f32_e32 v[22:23], v23
	s_waitcnt vmcnt(0)
	v_fmac_f64_e32 v[2:3], v[32:33], v[28:29]
	v_fmac_f64_e32 v[0:1], v[22:23], v[28:29]
	v_fma_f64 v[2:3], -v[22:23], v[30:31], v[2:3]
	v_fmac_f64_e32 v[0:1], v[32:33], v[30:31]
	s_andn2_b64 exec, exec, s[30:31]
	s_cbranch_execz .LBB103_14
.LBB103_19:                             ;   Parent Loop BB103_12 Depth=1
                                        ;     Parent Loop BB103_16 Depth=2
                                        ; =>    This Inner Loop Header: Depth=3
	s_and_b64 vcc, exec, s[14:15]
	s_cbranch_vccz .LBB103_21
; %bb.20:                               ;   in Loop: Header=BB103_19 Depth=3
	v_ashrrev_i32_e32 v23, 31, v26
	v_add_co_u32_e32 v22, vcc, v18, v26
	v_addc_co_u32_e32 v23, vcc, v19, v23, vcc
	s_cbranch_execnz .LBB103_18
	s_branch .LBB103_22
.LBB103_21:                             ;   in Loop: Header=BB103_19 Depth=3
                                        ; implicit-def: $vgpr22_vgpr23
.LBB103_22:                             ;   in Loop: Header=BB103_19 Depth=3
	v_add_co_u32_e32 v22, vcc, v16, v20
	v_addc_co_u32_e32 v23, vcc, v17, v21, vcc
	s_branch .LBB103_18
.LBB103_23:                             ;   in Loop: Header=BB103_12 Depth=1
	s_nop 0
	v_mov_b32_dpp v16, v2 row_shr:1 row_mask:0xf bank_mask:0xf
	v_mov_b32_dpp v17, v3 row_shr:1 row_mask:0xf bank_mask:0xf
	v_mov_b32_dpp v18, v0 row_shr:1 row_mask:0xf bank_mask:0xf
	v_mov_b32_dpp v19, v1 row_shr:1 row_mask:0xf bank_mask:0xf
	v_add_f64 v[2:3], v[2:3], v[16:17]
	v_add_f64 v[0:1], v[0:1], v[18:19]
	s_nop 0
	v_mov_b32_dpp v16, v2 row_shr:2 row_mask:0xf bank_mask:0xf
	v_mov_b32_dpp v17, v3 row_shr:2 row_mask:0xf bank_mask:0xf
	v_mov_b32_dpp v18, v0 row_shr:2 row_mask:0xf bank_mask:0xf
	v_mov_b32_dpp v19, v1 row_shr:2 row_mask:0xf bank_mask:0xf
	v_add_f64 v[2:3], v[2:3], v[16:17]
	v_add_f64 v[0:1], v[0:1], v[18:19]
	;; [unrolled: 7-line block ×3, first 2 shown]
	s_nop 0
	v_mov_b32_dpp v16, v2 row_shr:8 row_mask:0xf bank_mask:0xc
	v_mov_b32_dpp v17, v3 row_shr:8 row_mask:0xf bank_mask:0xc
	;; [unrolled: 1-line block ×4, first 2 shown]
	s_and_saveexec_b64 s[8:9], s[2:3]
	s_cbranch_execz .LBB103_11
; %bb.24:                               ;   in Loop: Header=BB103_12 Depth=1
	v_add_f64 v[20:21], v[2:3], v[16:17]
	v_add_f64 v[2:3], v[0:1], v[18:19]
	v_mul_f64 v[0:1], v[2:3], -v[6:7]
	v_mul_f64 v[2:3], v[4:5], v[2:3]
	v_add_u32_e32 v16, s37, v12
	v_fmac_f64_e32 v[0:1], v[4:5], v[20:21]
	v_fmac_f64_e32 v[2:3], v[6:7], v[20:21]
	v_ashrrev_i32_e32 v17, 31, v16
	s_and_saveexec_b64 s[28:29], s[26:27]
	s_xor_b64 s[28:29], exec, s[28:29]
	s_cbranch_execz .LBB103_26
; %bb.25:                               ;   in Loop: Header=BB103_12 Depth=1
	v_lshlrev_b64 v[16:17], 4, v[16:17]
	v_mov_b32_e32 v13, s13
	v_add_co_u32_e32 v16, vcc, s12, v16
	v_addc_co_u32_e32 v17, vcc, v13, v17, vcc
	global_store_dwordx4 v[16:17], v[0:3], off
                                        ; implicit-def: $vgpr16
                                        ; implicit-def: $vgpr0_vgpr1
.LBB103_26:                             ;   in Loop: Header=BB103_12 Depth=1
	s_andn2_saveexec_b64 s[28:29], s[28:29]
	s_cbranch_execz .LBB103_11
; %bb.27:                               ;   in Loop: Header=BB103_12 Depth=1
	v_lshlrev_b64 v[16:17], 4, v[16:17]
	v_mov_b32_e32 v13, s13
	v_add_co_u32_e32 v20, vcc, s12, v16
	v_addc_co_u32_e32 v21, vcc, v13, v17, vcc
	global_load_dwordx4 v[16:19], v[20:21], off
	s_waitcnt vmcnt(0)
	v_fmac_f64_e32 v[0:1], v[8:9], v[16:17]
	v_fmac_f64_e32 v[2:3], v[10:11], v[16:17]
	v_fma_f64 v[0:1], -v[10:11], v[18:19], v[0:1]
	v_fmac_f64_e32 v[2:3], v[8:9], v[18:19]
	global_store_dwordx4 v[20:21], v[0:3], off
	s_branch .LBB103_11
.LBB103_28:
	s_endpgm
	.section	.rodata,"a",@progbits
	.p2align	6, 0x0
	.amdhsa_kernel _ZN9rocsparseL22bsrxmvn_general_kernelILj256ELj16E21rocsparse_complex_numIdEliS1_IfES2_S2_EEv20rocsparse_direction_NS_24const_host_device_scalarIT1_EET3_PKS8_PKT2_SD_SA_PKT4_S8_PKT5_S7_PT6_21rocsparse_index_base_b
		.amdhsa_group_segment_fixed_size 4096
		.amdhsa_private_segment_fixed_size 0
		.amdhsa_kernarg_size 120
		.amdhsa_user_sgpr_count 8
		.amdhsa_user_sgpr_private_segment_buffer 1
		.amdhsa_user_sgpr_dispatch_ptr 1
		.amdhsa_user_sgpr_queue_ptr 0
		.amdhsa_user_sgpr_kernarg_segment_ptr 1
		.amdhsa_user_sgpr_dispatch_id 0
		.amdhsa_user_sgpr_flat_scratch_init 0
		.amdhsa_user_sgpr_kernarg_preload_length 0
		.amdhsa_user_sgpr_kernarg_preload_offset 0
		.amdhsa_user_sgpr_private_segment_size 0
		.amdhsa_uses_dynamic_stack 0
		.amdhsa_system_sgpr_private_segment_wavefront_offset 0
		.amdhsa_system_sgpr_workgroup_id_x 1
		.amdhsa_system_sgpr_workgroup_id_y 0
		.amdhsa_system_sgpr_workgroup_id_z 0
		.amdhsa_system_sgpr_workgroup_info 0
		.amdhsa_system_vgpr_workitem_id 2
		.amdhsa_next_free_vgpr 34
		.amdhsa_next_free_sgpr 42
		.amdhsa_accum_offset 36
		.amdhsa_reserve_vcc 1
		.amdhsa_reserve_flat_scratch 0
		.amdhsa_float_round_mode_32 0
		.amdhsa_float_round_mode_16_64 0
		.amdhsa_float_denorm_mode_32 3
		.amdhsa_float_denorm_mode_16_64 3
		.amdhsa_dx10_clamp 1
		.amdhsa_ieee_mode 1
		.amdhsa_fp16_overflow 0
		.amdhsa_tg_split 0
		.amdhsa_exception_fp_ieee_invalid_op 0
		.amdhsa_exception_fp_denorm_src 0
		.amdhsa_exception_fp_ieee_div_zero 0
		.amdhsa_exception_fp_ieee_overflow 0
		.amdhsa_exception_fp_ieee_underflow 0
		.amdhsa_exception_fp_ieee_inexact 0
		.amdhsa_exception_int_div_zero 0
	.end_amdhsa_kernel
	.section	.text._ZN9rocsparseL22bsrxmvn_general_kernelILj256ELj16E21rocsparse_complex_numIdEliS1_IfES2_S2_EEv20rocsparse_direction_NS_24const_host_device_scalarIT1_EET3_PKS8_PKT2_SD_SA_PKT4_S8_PKT5_S7_PT6_21rocsparse_index_base_b,"axG",@progbits,_ZN9rocsparseL22bsrxmvn_general_kernelILj256ELj16E21rocsparse_complex_numIdEliS1_IfES2_S2_EEv20rocsparse_direction_NS_24const_host_device_scalarIT1_EET3_PKS8_PKT2_SD_SA_PKT4_S8_PKT5_S7_PT6_21rocsparse_index_base_b,comdat
.Lfunc_end103:
	.size	_ZN9rocsparseL22bsrxmvn_general_kernelILj256ELj16E21rocsparse_complex_numIdEliS1_IfES2_S2_EEv20rocsparse_direction_NS_24const_host_device_scalarIT1_EET3_PKS8_PKT2_SD_SA_PKT4_S8_PKT5_S7_PT6_21rocsparse_index_base_b, .Lfunc_end103-_ZN9rocsparseL22bsrxmvn_general_kernelILj256ELj16E21rocsparse_complex_numIdEliS1_IfES2_S2_EEv20rocsparse_direction_NS_24const_host_device_scalarIT1_EET3_PKS8_PKT2_SD_SA_PKT4_S8_PKT5_S7_PT6_21rocsparse_index_base_b
                                        ; -- End function
	.section	.AMDGPU.csdata,"",@progbits
; Kernel info:
; codeLenInByte = 1424
; NumSgprs: 46
; NumVgprs: 34
; NumAgprs: 0
; TotalNumVgprs: 34
; ScratchSize: 0
; MemoryBound: 0
; FloatMode: 240
; IeeeMode: 1
; LDSByteSize: 4096 bytes/workgroup (compile time only)
; SGPRBlocks: 5
; VGPRBlocks: 4
; NumSGPRsForWavesPerEU: 46
; NumVGPRsForWavesPerEU: 34
; AccumOffset: 36
; Occupancy: 8
; WaveLimiterHint : 1
; COMPUTE_PGM_RSRC2:SCRATCH_EN: 0
; COMPUTE_PGM_RSRC2:USER_SGPR: 8
; COMPUTE_PGM_RSRC2:TRAP_HANDLER: 0
; COMPUTE_PGM_RSRC2:TGID_X_EN: 1
; COMPUTE_PGM_RSRC2:TGID_Y_EN: 0
; COMPUTE_PGM_RSRC2:TGID_Z_EN: 0
; COMPUTE_PGM_RSRC2:TIDIG_COMP_CNT: 2
; COMPUTE_PGM_RSRC3_GFX90A:ACCUM_OFFSET: 8
; COMPUTE_PGM_RSRC3_GFX90A:TG_SPLIT: 0
	.section	.text._ZN9rocsparseL22bsrxmvn_general_kernelILj1024ELj32E21rocsparse_complex_numIdEliS1_IfES2_S2_EEv20rocsparse_direction_NS_24const_host_device_scalarIT1_EET3_PKS8_PKT2_SD_SA_PKT4_S8_PKT5_S7_PT6_21rocsparse_index_base_b,"axG",@progbits,_ZN9rocsparseL22bsrxmvn_general_kernelILj1024ELj32E21rocsparse_complex_numIdEliS1_IfES2_S2_EEv20rocsparse_direction_NS_24const_host_device_scalarIT1_EET3_PKS8_PKT2_SD_SA_PKT4_S8_PKT5_S7_PT6_21rocsparse_index_base_b,comdat
	.globl	_ZN9rocsparseL22bsrxmvn_general_kernelILj1024ELj32E21rocsparse_complex_numIdEliS1_IfES2_S2_EEv20rocsparse_direction_NS_24const_host_device_scalarIT1_EET3_PKS8_PKT2_SD_SA_PKT4_S8_PKT5_S7_PT6_21rocsparse_index_base_b ; -- Begin function _ZN9rocsparseL22bsrxmvn_general_kernelILj1024ELj32E21rocsparse_complex_numIdEliS1_IfES2_S2_EEv20rocsparse_direction_NS_24const_host_device_scalarIT1_EET3_PKS8_PKT2_SD_SA_PKT4_S8_PKT5_S7_PT6_21rocsparse_index_base_b
	.p2align	8
	.type	_ZN9rocsparseL22bsrxmvn_general_kernelILj1024ELj32E21rocsparse_complex_numIdEliS1_IfES2_S2_EEv20rocsparse_direction_NS_24const_host_device_scalarIT1_EET3_PKS8_PKT2_SD_SA_PKT4_S8_PKT5_S7_PT6_21rocsparse_index_base_b,@function
_ZN9rocsparseL22bsrxmvn_general_kernelILj1024ELj32E21rocsparse_complex_numIdEliS1_IfES2_S2_EEv20rocsparse_direction_NS_24const_host_device_scalarIT1_EET3_PKS8_PKT2_SD_SA_PKT4_S8_PKT5_S7_PT6_21rocsparse_index_base_b: ; @_ZN9rocsparseL22bsrxmvn_general_kernelILj1024ELj32E21rocsparse_complex_numIdEliS1_IfES2_S2_EEv20rocsparse_direction_NS_24const_host_device_scalarIT1_EET3_PKS8_PKT2_SD_SA_PKT4_S8_PKT5_S7_PT6_21rocsparse_index_base_b
; %bb.0:
	s_load_dwordx2 s[10:11], s[6:7], 0x70
	s_load_dwordx4 s[12:15], s[6:7], 0x8
	s_load_dwordx2 s[20:21], s[4:5], 0x4
	s_load_dwordx4 s[16:19], s[6:7], 0x58
	s_mov_b64 s[2:3], src_shared_base
	v_and_b32_e32 v1, 0x3ff, v0
	s_waitcnt lgkmcnt(0)
	s_bitcmp1_b32 s11, 0
	s_cselect_b64 s[0:1], -1, 0
	s_and_b64 vcc, s[0:1], exec
	s_cselect_b32 s2, s3, s13
	s_lshr_b32 s4, s20, 16
	s_mul_i32 s4, s4, s21
	v_mul_lo_u32 v2, s4, v1
	v_bfe_u32 v3, v0, 10, 10
	v_mad_u32_u24 v2, v3, s21, v2
	v_bfe_u32 v0, v0, 20, 10
	v_add_lshl_u32 v0, v2, v0, 3
	v_mov_b32_e32 v6, s12
	v_add_u32_e32 v7, 0x2000, v0
	v_pk_mov_b32 v[2:3], s[12:13], s[12:13] op_sel:[0,1]
	v_pk_mov_b32 v[4:5], s[16:17], s[16:17] op_sel:[0,1]
	ds_write2st64_b64 v0, v[4:5], v[2:3] offset1:16
	v_cndmask_b32_e64 v2, v6, v7, s[0:1]
	v_mov_b32_e32 v3, s2
	flat_load_dwordx2 v[4:5], v[2:3]
	s_xor_b64 s[4:5], s[0:1], -1
	v_pk_mov_b32 v[6:7], s[14:15], s[14:15] op_sel:[0,1]
	s_cbranch_vccnz .LBB104_2
; %bb.1:
	v_pk_mov_b32 v[2:3], s[12:13], s[12:13] op_sel:[0,1]
	flat_load_dwordx2 v[6:7], v[2:3] offset:8
.LBB104_2:
	s_and_b64 s[12:13], s[0:1], exec
	s_cselect_b32 s2, s3, s17
	v_mov_b32_e32 v2, s16
	v_cndmask_b32_e64 v2, v2, v0, s[0:1]
	v_mov_b32_e32 v3, s2
	flat_load_dwordx2 v[8:9], v[2:3]
	s_andn2_b64 vcc, exec, s[4:5]
	v_pk_mov_b32 v[10:11], s[18:19], s[18:19] op_sel:[0,1]
	s_cbranch_vccnz .LBB104_4
; %bb.3:
	v_pk_mov_b32 v[2:3], s[16:17], s[16:17] op_sel:[0,1]
	flat_load_dwordx2 v[10:11], v[2:3] offset:8
.LBB104_4:
	s_waitcnt vmcnt(0) lgkmcnt(0)
	v_cmp_eq_f64_e32 vcc, 0, v[4:5]
	v_cmp_eq_f64_e64 s[0:1], 0, v[6:7]
	s_and_b64 s[4:5], vcc, s[0:1]
	s_mov_b64 s[0:1], -1
	s_and_saveexec_b64 s[2:3], s[4:5]
; %bb.5:
	v_cmp_neq_f64_e32 vcc, 1.0, v[8:9]
	v_cmp_neq_f64_e64 s[0:1], 0, v[10:11]
	s_or_b64 s[0:1], vcc, s[0:1]
	s_orn2_b64 s[0:1], s[0:1], exec
; %bb.6:
	s_or_b64 exec, exec, s[2:3]
	s_and_saveexec_b64 s[2:3], s[0:1]
	s_cbranch_execz .LBB104_28
; %bb.7:
	s_load_dwordx2 s[0:1], s[6:7], 0x20
	s_waitcnt lgkmcnt(0)
	s_cmp_eq_u64 s[0:1], 0
	s_cbranch_scc1 .LBB104_9
; %bb.8:
	s_ashr_i32 s9, s8, 31
	s_lshl_b64 s[2:3], s[8:9], 2
	s_add_u32 s0, s0, s2
	s_addc_u32 s1, s1, s3
	s_load_dword s0, s[0:1], 0x0
	s_waitcnt lgkmcnt(0)
	s_sub_i32 s8, s0, s10
.LBB104_9:
	s_load_dword s11, s[6:7], 0x48
	v_lshrrev_b32_e32 v12, 5, v1
	s_waitcnt lgkmcnt(0)
	v_cmp_gt_i32_e32 vcc, s11, v12
	s_and_b64 exec, exec, vcc
	s_cbranch_execz .LBB104_28
; %bb.10:
	s_load_dwordx8 s[12:19], s[6:7], 0x28
	s_ashr_i32 s9, s8, 31
	s_lshl_b64 s[0:1], s[8:9], 3
	v_and_b32_e32 v14, 31, v1
	s_mul_hi_u32 s33, s11, s11
	s_waitcnt lgkmcnt(0)
	s_add_u32 s2, s12, s0
	s_addc_u32 s3, s13, s1
	s_load_dwordx2 s[28:29], s[2:3], 0x0
	s_load_dwordx2 s[12:13], s[6:7], 0x68
	;; [unrolled: 1-line block ×3, first 2 shown]
	s_mul_i32 s36, s11, s11
	v_cmp_eq_f64_e32 vcc, 0, v[8:9]
	s_waitcnt lgkmcnt(0)
	s_sub_u32 s24, s28, s10
	s_subb_u32 s25, s29, 0
	s_add_u32 s2, s2, 8
	s_addc_u32 s3, s3, 0
	s_add_u32 s0, s14, s0
	s_addc_u32 s1, s15, s1
	s_cmp_eq_u64 s[14:15], 0
	s_cselect_b32 s1, s3, s1
	s_cselect_b32 s0, s2, s0
	s_load_dwordx2 s[2:3], s[0:1], 0x0
	s_load_dword s4, s[6:7], 0x0
	v_mov_b32_e32 v13, 0
	s_mov_b64 s[22:23], 0
	v_cmp_gt_u32_e64 s[0:1], s11, v14
	s_waitcnt lgkmcnt(0)
	s_sub_u32 s6, s2, s10
	s_subb_u32 s7, s3, 0
	v_pk_mov_b32 v[0:1], s[2:3], s[2:3] op_sel:[0,1]
	s_cmp_lg_u32 s4, 0
	v_cmp_eq_f64_e64 s[4:5], 0, v[10:11]
	s_cselect_b64 s[14:15], -1, 0
	s_and_b64 s[26:27], vcc, s[4:5]
	s_mul_i32 s4, s24, s33
	s_mul_hi_u32 s5, s24, s36
	v_cmp_lt_i64_e32 vcc, s[28:29], v[0:1]
	s_add_i32 s4, s5, s4
	s_mul_i32 s5, s25, s36
	v_cndmask_b32_e64 v0, 0, 1, vcc
	v_cmp_eq_u32_e64 s[2:3], 31, v14
	s_mul_i32 s37, s8, s11
	s_add_i32 s38, s4, s5
	s_mul_i32 s39, s24, s36
	v_mul_lo_u32 v24, s11, v12
	s_lshl_b32 s40, s11, 5
	v_mov_b32_e32 v15, v13
	v_mul_lo_u32 v25, s11, v14
	v_cmp_ne_u32_e64 s[4:5], 1, v0
	s_branch .LBB104_12
.LBB104_11:                             ;   in Loop: Header=BB104_12 Depth=1
	s_or_b64 exec, exec, s[8:9]
	v_add_u32_e32 v12, 32, v12
	v_cmp_le_i32_e32 vcc, s11, v12
	s_or_b64 s[22:23], vcc, s[22:23]
	v_add_u32_e32 v24, s40, v24
	s_andn2_b64 exec, exec, s[22:23]
	s_cbranch_execz .LBB104_28
.LBB104_12:                             ; =>This Loop Header: Depth=1
                                        ;     Child Loop BB104_16 Depth 2
                                        ;       Child Loop BB104_19 Depth 3
	v_pk_mov_b32 v[0:1], 0, 0
	s_and_b64 vcc, exec, s[4:5]
	v_pk_mov_b32 v[2:3], v[0:1], v[0:1] op_sel:[0,1]
	s_cbranch_vccnz .LBB104_23
; %bb.13:                               ;   in Loop: Header=BB104_12 Depth=1
	v_ashrrev_i32_e32 v0, 31, v24
	v_mov_b32_e32 v1, s38
	v_add_co_u32_e32 v16, vcc, s39, v24
	v_addc_co_u32_e32 v17, vcc, v1, v0, vcc
	v_pk_mov_b32 v[0:1], 0, 0
	s_mov_b64 s[8:9], s[24:25]
	v_pk_mov_b32 v[2:3], v[0:1], v[0:1] op_sel:[0,1]
	s_branch .LBB104_16
.LBB104_14:                             ;   in Loop: Header=BB104_16 Depth=2
	s_or_b64 exec, exec, s[30:31]
.LBB104_15:                             ;   in Loop: Header=BB104_16 Depth=2
	s_or_b64 exec, exec, s[28:29]
	s_add_u32 s8, s8, 1
	v_mov_b32_e32 v18, s33
	v_add_co_u32_e32 v16, vcc, s36, v16
	s_addc_u32 s9, s9, 0
	v_addc_co_u32_e32 v17, vcc, v17, v18, vcc
	v_pk_mov_b32 v[18:19], s[6:7], s[6:7] op_sel:[0,1]
	v_cmp_ge_i64_e32 vcc, s[8:9], v[18:19]
	s_cbranch_vccnz .LBB104_23
.LBB104_16:                             ;   Parent Loop BB104_12 Depth=1
                                        ; =>  This Loop Header: Depth=2
                                        ;       Child Loop BB104_19 Depth 3
	s_and_saveexec_b64 s[28:29], s[0:1]
	s_cbranch_execz .LBB104_15
; %bb.17:                               ;   in Loop: Header=BB104_16 Depth=2
	s_lshl_b64 s[30:31], s[8:9], 2
	s_add_u32 s30, s16, s30
	s_addc_u32 s31, s17, s31
	s_load_dword s30, s[30:31], 0x0
	s_mul_i32 s31, s33, s8
	s_mul_i32 s34, s36, s9
	v_mov_b32_e32 v18, s8
	s_add_i32 s34, s34, s31
	s_waitcnt lgkmcnt(0)
	s_sub_i32 s35, s30, s10
	v_mad_u64_u32 v[18:19], s[30:31], s36, v18, v[12:13]
	v_add_u32_e32 v19, s34, v19
	s_mul_i32 s41, s35, s11
	s_mov_b64 s[30:31], 0
	v_mov_b32_e32 v26, v25
	v_pk_mov_b32 v[20:21], v[14:15], v[14:15] op_sel:[0,1]
	s_branch .LBB104_19
.LBB104_18:                             ;   in Loop: Header=BB104_19 Depth=3
	v_lshlrev_b64 v[22:23], 3, v[22:23]
	v_add_u32_e32 v28, s41, v20
	v_mov_b32_e32 v27, s19
	v_add_co_u32_e32 v22, vcc, s18, v22
	v_ashrrev_i32_e32 v29, 31, v28
	v_addc_co_u32_e32 v23, vcc, v27, v23, vcc
	v_lshlrev_b64 v[28:29], 4, v[28:29]
	v_mov_b32_e32 v27, s21
	v_add_co_u32_e32 v28, vcc, s20, v28
	global_load_dwordx2 v[22:23], v[22:23], off
	v_addc_co_u32_e32 v29, vcc, v27, v29, vcc
	global_load_dwordx4 v[28:31], v[28:29], off
	v_add_co_u32_e32 v20, vcc, 32, v20
	v_addc_co_u32_e32 v21, vcc, 0, v21, vcc
	v_cmp_le_i32_e32 vcc, s11, v20
	s_or_b64 s[30:31], vcc, s[30:31]
	v_add_u32_e32 v26, s40, v26
	s_waitcnt vmcnt(1)
	v_cvt_f64_f32_e32 v[32:33], v22
	v_cvt_f64_f32_e32 v[22:23], v23
	s_waitcnt vmcnt(0)
	v_fmac_f64_e32 v[2:3], v[32:33], v[28:29]
	v_fmac_f64_e32 v[0:1], v[22:23], v[28:29]
	v_fma_f64 v[2:3], -v[22:23], v[30:31], v[2:3]
	v_fmac_f64_e32 v[0:1], v[32:33], v[30:31]
	s_andn2_b64 exec, exec, s[30:31]
	s_cbranch_execz .LBB104_14
.LBB104_19:                             ;   Parent Loop BB104_12 Depth=1
                                        ;     Parent Loop BB104_16 Depth=2
                                        ; =>    This Inner Loop Header: Depth=3
	s_and_b64 vcc, exec, s[14:15]
	s_cbranch_vccz .LBB104_21
; %bb.20:                               ;   in Loop: Header=BB104_19 Depth=3
	v_ashrrev_i32_e32 v23, 31, v26
	v_add_co_u32_e32 v22, vcc, v18, v26
	v_addc_co_u32_e32 v23, vcc, v19, v23, vcc
	s_cbranch_execnz .LBB104_18
	s_branch .LBB104_22
.LBB104_21:                             ;   in Loop: Header=BB104_19 Depth=3
                                        ; implicit-def: $vgpr22_vgpr23
.LBB104_22:                             ;   in Loop: Header=BB104_19 Depth=3
	v_add_co_u32_e32 v22, vcc, v16, v20
	v_addc_co_u32_e32 v23, vcc, v17, v21, vcc
	s_branch .LBB104_18
.LBB104_23:                             ;   in Loop: Header=BB104_12 Depth=1
	s_nop 0
	v_mov_b32_dpp v16, v2 row_shr:1 row_mask:0xf bank_mask:0xf
	v_mov_b32_dpp v17, v3 row_shr:1 row_mask:0xf bank_mask:0xf
	v_mov_b32_dpp v18, v0 row_shr:1 row_mask:0xf bank_mask:0xf
	v_mov_b32_dpp v19, v1 row_shr:1 row_mask:0xf bank_mask:0xf
	v_add_f64 v[2:3], v[2:3], v[16:17]
	v_add_f64 v[0:1], v[0:1], v[18:19]
	s_nop 0
	v_mov_b32_dpp v16, v2 row_shr:2 row_mask:0xf bank_mask:0xf
	v_mov_b32_dpp v17, v3 row_shr:2 row_mask:0xf bank_mask:0xf
	v_mov_b32_dpp v18, v0 row_shr:2 row_mask:0xf bank_mask:0xf
	v_mov_b32_dpp v19, v1 row_shr:2 row_mask:0xf bank_mask:0xf
	v_add_f64 v[2:3], v[2:3], v[16:17]
	v_add_f64 v[0:1], v[0:1], v[18:19]
	;; [unrolled: 7-line block ×4, first 2 shown]
	s_nop 0
	v_mov_b32_dpp v16, v2 row_bcast:15 row_mask:0xa bank_mask:0xf
	v_mov_b32_dpp v17, v3 row_bcast:15 row_mask:0xa bank_mask:0xf
	;; [unrolled: 1-line block ×4, first 2 shown]
	s_and_saveexec_b64 s[8:9], s[2:3]
	s_cbranch_execz .LBB104_11
; %bb.24:                               ;   in Loop: Header=BB104_12 Depth=1
	v_add_f64 v[20:21], v[2:3], v[16:17]
	v_add_f64 v[2:3], v[0:1], v[18:19]
	v_mul_f64 v[0:1], v[2:3], -v[6:7]
	v_mul_f64 v[2:3], v[4:5], v[2:3]
	v_add_u32_e32 v16, s37, v12
	v_fmac_f64_e32 v[0:1], v[4:5], v[20:21]
	v_fmac_f64_e32 v[2:3], v[6:7], v[20:21]
	v_ashrrev_i32_e32 v17, 31, v16
	s_and_saveexec_b64 s[28:29], s[26:27]
	s_xor_b64 s[28:29], exec, s[28:29]
	s_cbranch_execz .LBB104_26
; %bb.25:                               ;   in Loop: Header=BB104_12 Depth=1
	v_lshlrev_b64 v[16:17], 4, v[16:17]
	v_mov_b32_e32 v18, s13
	v_add_co_u32_e32 v16, vcc, s12, v16
	v_addc_co_u32_e32 v17, vcc, v18, v17, vcc
	global_store_dwordx4 v[16:17], v[0:3], off
                                        ; implicit-def: $vgpr16
                                        ; implicit-def: $vgpr0_vgpr1
.LBB104_26:                             ;   in Loop: Header=BB104_12 Depth=1
	s_andn2_saveexec_b64 s[28:29], s[28:29]
	s_cbranch_execz .LBB104_11
; %bb.27:                               ;   in Loop: Header=BB104_12 Depth=1
	v_lshlrev_b64 v[16:17], 4, v[16:17]
	v_mov_b32_e32 v18, s13
	v_add_co_u32_e32 v20, vcc, s12, v16
	v_addc_co_u32_e32 v21, vcc, v18, v17, vcc
	global_load_dwordx4 v[16:19], v[20:21], off
	s_waitcnt vmcnt(0)
	v_fmac_f64_e32 v[0:1], v[8:9], v[16:17]
	v_fmac_f64_e32 v[2:3], v[10:11], v[16:17]
	v_fma_f64 v[0:1], -v[10:11], v[18:19], v[0:1]
	v_fmac_f64_e32 v[2:3], v[8:9], v[18:19]
	global_store_dwordx4 v[20:21], v[0:3], off
	s_branch .LBB104_11
.LBB104_28:
	s_endpgm
	.section	.rodata,"a",@progbits
	.p2align	6, 0x0
	.amdhsa_kernel _ZN9rocsparseL22bsrxmvn_general_kernelILj1024ELj32E21rocsparse_complex_numIdEliS1_IfES2_S2_EEv20rocsparse_direction_NS_24const_host_device_scalarIT1_EET3_PKS8_PKT2_SD_SA_PKT4_S8_PKT5_S7_PT6_21rocsparse_index_base_b
		.amdhsa_group_segment_fixed_size 16384
		.amdhsa_private_segment_fixed_size 0
		.amdhsa_kernarg_size 120
		.amdhsa_user_sgpr_count 8
		.amdhsa_user_sgpr_private_segment_buffer 1
		.amdhsa_user_sgpr_dispatch_ptr 1
		.amdhsa_user_sgpr_queue_ptr 0
		.amdhsa_user_sgpr_kernarg_segment_ptr 1
		.amdhsa_user_sgpr_dispatch_id 0
		.amdhsa_user_sgpr_flat_scratch_init 0
		.amdhsa_user_sgpr_kernarg_preload_length 0
		.amdhsa_user_sgpr_kernarg_preload_offset 0
		.amdhsa_user_sgpr_private_segment_size 0
		.amdhsa_uses_dynamic_stack 0
		.amdhsa_system_sgpr_private_segment_wavefront_offset 0
		.amdhsa_system_sgpr_workgroup_id_x 1
		.amdhsa_system_sgpr_workgroup_id_y 0
		.amdhsa_system_sgpr_workgroup_id_z 0
		.amdhsa_system_sgpr_workgroup_info 0
		.amdhsa_system_vgpr_workitem_id 2
		.amdhsa_next_free_vgpr 34
		.amdhsa_next_free_sgpr 42
		.amdhsa_accum_offset 36
		.amdhsa_reserve_vcc 1
		.amdhsa_reserve_flat_scratch 0
		.amdhsa_float_round_mode_32 0
		.amdhsa_float_round_mode_16_64 0
		.amdhsa_float_denorm_mode_32 3
		.amdhsa_float_denorm_mode_16_64 3
		.amdhsa_dx10_clamp 1
		.amdhsa_ieee_mode 1
		.amdhsa_fp16_overflow 0
		.amdhsa_tg_split 0
		.amdhsa_exception_fp_ieee_invalid_op 0
		.amdhsa_exception_fp_denorm_src 0
		.amdhsa_exception_fp_ieee_div_zero 0
		.amdhsa_exception_fp_ieee_overflow 0
		.amdhsa_exception_fp_ieee_underflow 0
		.amdhsa_exception_fp_ieee_inexact 0
		.amdhsa_exception_int_div_zero 0
	.end_amdhsa_kernel
	.section	.text._ZN9rocsparseL22bsrxmvn_general_kernelILj1024ELj32E21rocsparse_complex_numIdEliS1_IfES2_S2_EEv20rocsparse_direction_NS_24const_host_device_scalarIT1_EET3_PKS8_PKT2_SD_SA_PKT4_S8_PKT5_S7_PT6_21rocsparse_index_base_b,"axG",@progbits,_ZN9rocsparseL22bsrxmvn_general_kernelILj1024ELj32E21rocsparse_complex_numIdEliS1_IfES2_S2_EEv20rocsparse_direction_NS_24const_host_device_scalarIT1_EET3_PKS8_PKT2_SD_SA_PKT4_S8_PKT5_S7_PT6_21rocsparse_index_base_b,comdat
.Lfunc_end104:
	.size	_ZN9rocsparseL22bsrxmvn_general_kernelILj1024ELj32E21rocsparse_complex_numIdEliS1_IfES2_S2_EEv20rocsparse_direction_NS_24const_host_device_scalarIT1_EET3_PKS8_PKT2_SD_SA_PKT4_S8_PKT5_S7_PT6_21rocsparse_index_base_b, .Lfunc_end104-_ZN9rocsparseL22bsrxmvn_general_kernelILj1024ELj32E21rocsparse_complex_numIdEliS1_IfES2_S2_EEv20rocsparse_direction_NS_24const_host_device_scalarIT1_EET3_PKS8_PKT2_SD_SA_PKT4_S8_PKT5_S7_PT6_21rocsparse_index_base_b
                                        ; -- End function
	.section	.AMDGPU.csdata,"",@progbits
; Kernel info:
; codeLenInByte = 1476
; NumSgprs: 46
; NumVgprs: 34
; NumAgprs: 0
; TotalNumVgprs: 34
; ScratchSize: 0
; MemoryBound: 0
; FloatMode: 240
; IeeeMode: 1
; LDSByteSize: 16384 bytes/workgroup (compile time only)
; SGPRBlocks: 5
; VGPRBlocks: 4
; NumSGPRsForWavesPerEU: 46
; NumVGPRsForWavesPerEU: 34
; AccumOffset: 36
; Occupancy: 8
; WaveLimiterHint : 1
; COMPUTE_PGM_RSRC2:SCRATCH_EN: 0
; COMPUTE_PGM_RSRC2:USER_SGPR: 8
; COMPUTE_PGM_RSRC2:TRAP_HANDLER: 0
; COMPUTE_PGM_RSRC2:TGID_X_EN: 1
; COMPUTE_PGM_RSRC2:TGID_Y_EN: 0
; COMPUTE_PGM_RSRC2:TGID_Z_EN: 0
; COMPUTE_PGM_RSRC2:TIDIG_COMP_CNT: 2
; COMPUTE_PGM_RSRC3_GFX90A:ACCUM_OFFSET: 8
; COMPUTE_PGM_RSRC3_GFX90A:TG_SPLIT: 0
	.section	.text._ZN9rocsparseL22bsrxmvn_general_kernelILj64ELj8E21rocsparse_complex_numIdEllS1_IfES2_S2_EEv20rocsparse_direction_NS_24const_host_device_scalarIT1_EET3_PKS8_PKT2_SD_SA_PKT4_S8_PKT5_S7_PT6_21rocsparse_index_base_b,"axG",@progbits,_ZN9rocsparseL22bsrxmvn_general_kernelILj64ELj8E21rocsparse_complex_numIdEllS1_IfES2_S2_EEv20rocsparse_direction_NS_24const_host_device_scalarIT1_EET3_PKS8_PKT2_SD_SA_PKT4_S8_PKT5_S7_PT6_21rocsparse_index_base_b,comdat
	.globl	_ZN9rocsparseL22bsrxmvn_general_kernelILj64ELj8E21rocsparse_complex_numIdEllS1_IfES2_S2_EEv20rocsparse_direction_NS_24const_host_device_scalarIT1_EET3_PKS8_PKT2_SD_SA_PKT4_S8_PKT5_S7_PT6_21rocsparse_index_base_b ; -- Begin function _ZN9rocsparseL22bsrxmvn_general_kernelILj64ELj8E21rocsparse_complex_numIdEllS1_IfES2_S2_EEv20rocsparse_direction_NS_24const_host_device_scalarIT1_EET3_PKS8_PKT2_SD_SA_PKT4_S8_PKT5_S7_PT6_21rocsparse_index_base_b
	.p2align	8
	.type	_ZN9rocsparseL22bsrxmvn_general_kernelILj64ELj8E21rocsparse_complex_numIdEllS1_IfES2_S2_EEv20rocsparse_direction_NS_24const_host_device_scalarIT1_EET3_PKS8_PKT2_SD_SA_PKT4_S8_PKT5_S7_PT6_21rocsparse_index_base_b,@function
_ZN9rocsparseL22bsrxmvn_general_kernelILj64ELj8E21rocsparse_complex_numIdEllS1_IfES2_S2_EEv20rocsparse_direction_NS_24const_host_device_scalarIT1_EET3_PKS8_PKT2_SD_SA_PKT4_S8_PKT5_S7_PT6_21rocsparse_index_base_b: ; @_ZN9rocsparseL22bsrxmvn_general_kernelILj64ELj8E21rocsparse_complex_numIdEllS1_IfES2_S2_EEv20rocsparse_direction_NS_24const_host_device_scalarIT1_EET3_PKS8_PKT2_SD_SA_PKT4_S8_PKT5_S7_PT6_21rocsparse_index_base_b
; %bb.0:
	s_load_dwordx2 s[10:11], s[6:7], 0x70
	s_load_dwordx4 s[12:15], s[6:7], 0x8
	s_load_dwordx2 s[20:21], s[4:5], 0x4
	s_load_dwordx4 s[16:19], s[6:7], 0x58
	s_mov_b64 s[2:3], src_shared_base
	v_bfe_u32 v2, v0, 10, 10
	s_waitcnt lgkmcnt(0)
	s_bitcmp1_b32 s11, 0
	s_cselect_b64 s[0:1], -1, 0
	s_and_b64 vcc, s[0:1], exec
	s_cselect_b32 s2, s3, s13
	s_lshr_b32 s4, s20, 16
	v_and_b32_e32 v1, 0x3ff, v0
	s_mul_i32 s4, s4, s21
	v_mul_u32_u24_e32 v2, s21, v2
	v_mad_u32_u24 v2, s4, v1, v2
	v_bfe_u32 v0, v0, 20, 10
	v_add_lshl_u32 v0, v2, v0, 3
	v_mov_b32_e32 v6, s12
	v_add_u32_e32 v7, 0x200, v0
	v_pk_mov_b32 v[2:3], s[12:13], s[12:13] op_sel:[0,1]
	v_pk_mov_b32 v[4:5], s[16:17], s[16:17] op_sel:[0,1]
	ds_write2st64_b64 v0, v[4:5], v[2:3] offset1:1
	v_cndmask_b32_e64 v2, v6, v7, s[0:1]
	v_mov_b32_e32 v3, s2
	flat_load_dwordx2 v[4:5], v[2:3]
	s_xor_b64 s[4:5], s[0:1], -1
	v_pk_mov_b32 v[6:7], s[14:15], s[14:15] op_sel:[0,1]
	s_cbranch_vccnz .LBB105_2
; %bb.1:
	v_pk_mov_b32 v[2:3], s[12:13], s[12:13] op_sel:[0,1]
	flat_load_dwordx2 v[6:7], v[2:3] offset:8
.LBB105_2:
	s_and_b64 s[12:13], s[0:1], exec
	s_cselect_b32 s2, s3, s17
	v_mov_b32_e32 v2, s16
	v_cndmask_b32_e64 v2, v2, v0, s[0:1]
	v_mov_b32_e32 v3, s2
	flat_load_dwordx2 v[8:9], v[2:3]
	s_andn2_b64 vcc, exec, s[4:5]
	v_pk_mov_b32 v[10:11], s[18:19], s[18:19] op_sel:[0,1]
	s_cbranch_vccnz .LBB105_4
; %bb.3:
	v_pk_mov_b32 v[2:3], s[16:17], s[16:17] op_sel:[0,1]
	flat_load_dwordx2 v[10:11], v[2:3] offset:8
.LBB105_4:
	s_waitcnt vmcnt(0) lgkmcnt(0)
	v_cmp_eq_f64_e32 vcc, 0, v[4:5]
	v_cmp_eq_f64_e64 s[0:1], 0, v[6:7]
	s_and_b64 s[4:5], vcc, s[0:1]
	s_mov_b64 s[0:1], -1
	s_and_saveexec_b64 s[2:3], s[4:5]
; %bb.5:
	v_cmp_neq_f64_e32 vcc, 1.0, v[8:9]
	v_cmp_neq_f64_e64 s[0:1], 0, v[10:11]
	s_or_b64 s[0:1], vcc, s[0:1]
	s_orn2_b64 s[0:1], s[0:1], exec
; %bb.6:
	s_or_b64 exec, exec, s[2:3]
	s_and_saveexec_b64 s[2:3], s[0:1]
	s_cbranch_execz .LBB105_28
; %bb.7:
	s_load_dwordx2 s[0:1], s[6:7], 0x20
	s_mov_b32 s9, 0
	s_waitcnt lgkmcnt(0)
	s_cmp_eq_u64 s[0:1], 0
	s_cbranch_scc1 .LBB105_9
; %bb.8:
	s_lshl_b64 s[2:3], s[8:9], 3
	s_add_u32 s0, s0, s2
	s_addc_u32 s1, s1, s3
	s_load_dwordx2 s[0:1], s[0:1], 0x0
	s_waitcnt lgkmcnt(0)
	s_sub_u32 s8, s0, s10
	s_subb_u32 s9, s1, 0
.LBB105_9:
	s_load_dwordx2 s[20:21], s[6:7], 0x48
	v_lshrrev_b32_e32 v12, 3, v1
	v_mov_b32_e32 v13, 0
	s_waitcnt lgkmcnt(0)
	v_cmp_gt_i64_e32 vcc, s[20:21], v[12:13]
	s_and_b64 exec, exec, vcc
	s_cbranch_execz .LBB105_28
; %bb.10:
	s_load_dwordx8 s[12:19], s[6:7], 0x28
	s_lshl_b64 s[0:1], s[8:9], 3
	v_and_b32_e32 v14, 7, v1
	v_cmp_eq_f64_e32 vcc, 0, v[8:9]
	v_lshlrev_b32_e32 v2, 4, v14
	s_waitcnt lgkmcnt(0)
	s_add_u32 s2, s12, s0
	s_addc_u32 s3, s13, s1
	s_load_dwordx2 s[30:31], s[2:3], 0x0
	s_load_dwordx2 s[28:29], s[6:7], 0x68
	;; [unrolled: 1-line block ×3, first 2 shown]
	v_mov_b32_e32 v15, v13
	s_mov_b64 s[12:13], 0
	s_waitcnt lgkmcnt(0)
	s_sub_u32 s22, s30, s10
	s_subb_u32 s23, s31, 0
	s_add_u32 s2, s2, 8
	s_addc_u32 s3, s3, 0
	s_add_u32 s0, s14, s0
	s_addc_u32 s1, s15, s1
	s_cmp_eq_u64 s[14:15], 0
	s_cselect_b32 s1, s3, s1
	s_cselect_b32 s0, s2, s0
	s_load_dwordx2 s[4:5], s[0:1], 0x0
	s_load_dword s11, s[6:7], 0x0
	v_mov_b32_e32 v3, s35
	v_cmp_gt_u64_e64 s[0:1], s[20:21], v[14:15]
	v_cmp_eq_u32_e64 s[2:3], 7, v14
	s_waitcnt lgkmcnt(0)
	s_sub_u32 s14, s4, s10
	s_subb_u32 s15, s5, 0
	v_pk_mov_b32 v[0:1], s[4:5], s[4:5] op_sel:[0,1]
	s_cmp_lg_u32 s11, 0
	v_cmp_eq_f64_e64 s[4:5], 0, v[10:11]
	s_cselect_b64 s[24:25], -1, 0
	s_and_b64 s[26:27], vcc, s[4:5]
	s_mul_i32 s4, s8, s21
	s_mul_hi_u32 s5, s8, s20
	s_add_i32 s4, s5, s4
	s_mul_i32 s5, s9, s20
	s_add_i32 s5, s4, s5
	s_mul_i32 s4, s8, s20
	s_lshl_b64 s[4:5], s[4:5], 4
	v_add_co_u32_e32 v2, vcc, s34, v2
	s_add_u32 s11, s28, s4
	v_addc_co_u32_e32 v3, vcc, 0, v3, vcc
	s_addc_u32 s33, s29, s5
	v_add_co_u32_e32 v16, vcc, 8, v2
	s_mul_i32 s4, s21, s22
	s_mul_i32 s5, s20, s23
	v_mov_b32_e32 v2, s22
	v_addc_co_u32_e32 v17, vcc, 0, v3, vcc
	s_add_i32 s6, s5, s4
	v_mad_u64_u32 v[2:3], s[4:5], s20, v2, v[12:13]
	v_mad_u64_u32 v[18:19], s[4:5], s20, v2, 0
	v_add_u32_e32 v3, s6, v3
	s_mul_i32 s4, s20, s21
	s_mul_hi_u32 s5, s20, s20
	v_cmp_lt_i64_e32 vcc, s[30:31], v[0:1]
	v_mul_lo_u32 v3, s20, v3
	v_mul_lo_u32 v20, s21, v2
	s_add_i32 s5, s5, s4
	v_cndmask_b32_e64 v0, 0, 1, vcc
	s_lshl_b64 s[8:9], s[20:21], 4
	v_add3_u32 v19, v19, v3, v20
	s_lshl_b64 s[28:29], s[20:21], 3
	s_add_i32 s38, s5, s4
	s_mul_i32 s39, s20, s20
	v_cmp_ne_u32_e64 s[4:5], 1, v0
	s_branch .LBB105_12
.LBB105_11:                             ;   in Loop: Header=BB105_12 Depth=1
	s_or_b64 exec, exec, s[6:7]
	v_add_co_u32_e32 v12, vcc, 8, v12
	v_addc_co_u32_e32 v13, vcc, 0, v13, vcc
	v_cmp_le_i64_e32 vcc, s[20:21], v[12:13]
	v_mov_b32_e32 v0, s29
	s_or_b64 s[12:13], vcc, s[12:13]
	v_add_co_u32_e32 v18, vcc, s28, v18
	v_addc_co_u32_e32 v19, vcc, v19, v0, vcc
	s_andn2_b64 exec, exec, s[12:13]
	s_cbranch_execz .LBB105_28
.LBB105_12:                             ; =>This Loop Header: Depth=1
                                        ;     Child Loop BB105_16 Depth 2
                                        ;       Child Loop BB105_19 Depth 3
	v_pk_mov_b32 v[0:1], 0, 0
	s_and_b64 vcc, exec, s[4:5]
	v_pk_mov_b32 v[2:3], v[0:1], v[0:1] op_sel:[0,1]
	s_cbranch_vccnz .LBB105_23
; %bb.13:                               ;   in Loop: Header=BB105_12 Depth=1
	v_pk_mov_b32 v[0:1], 0, 0
	v_pk_mov_b32 v[20:21], v[18:19], v[18:19] op_sel:[0,1]
	s_mov_b64 s[30:31], s[22:23]
	v_pk_mov_b32 v[2:3], v[0:1], v[0:1] op_sel:[0,1]
	s_branch .LBB105_16
.LBB105_14:                             ;   in Loop: Header=BB105_16 Depth=2
	s_or_b64 exec, exec, s[36:37]
.LBB105_15:                             ;   in Loop: Header=BB105_16 Depth=2
	s_or_b64 exec, exec, s[34:35]
	s_add_u32 s30, s30, 1
	v_mov_b32_e32 v22, s38
	v_add_co_u32_e32 v20, vcc, s39, v20
	s_addc_u32 s31, s31, 0
	v_addc_co_u32_e32 v21, vcc, v21, v22, vcc
	v_pk_mov_b32 v[22:23], s[14:15], s[14:15] op_sel:[0,1]
	v_cmp_ge_i64_e32 vcc, s[30:31], v[22:23]
	s_cbranch_vccnz .LBB105_23
.LBB105_16:                             ;   Parent Loop BB105_12 Depth=1
                                        ; =>  This Loop Header: Depth=2
                                        ;       Child Loop BB105_19 Depth 3
	s_and_saveexec_b64 s[34:35], s[0:1]
	s_cbranch_execz .LBB105_15
; %bb.17:                               ;   in Loop: Header=BB105_16 Depth=2
	s_lshl_b64 s[6:7], s[30:31], 3
	s_add_u32 s6, s16, s6
	s_addc_u32 s7, s17, s7
	s_load_dwordx2 s[6:7], s[6:7], 0x0
	s_mul_i32 s36, s30, s21
	s_mul_hi_u32 s37, s30, s20
	s_mul_i32 s40, s31, s20
	s_mul_i32 s41, s30, s20
	s_waitcnt lgkmcnt(0)
	s_sub_u32 s6, s6, s10
	s_subb_u32 s7, s7, 0
	s_add_i32 s36, s37, s36
	s_add_i32 s40, s36, s40
	s_mul_i32 s36, s9, s6
	s_mul_i32 s7, s8, s7
	v_mov_b32_e32 v22, s6
	s_add_i32 s36, s7, s36
	v_mad_u64_u32 v[22:23], s[6:7], s8, v22, v[16:17]
	v_add_u32_e32 v23, s36, v23
	s_mov_b64 s[36:37], 0
	v_pk_mov_b32 v[24:25], v[14:15], v[14:15] op_sel:[0,1]
	s_branch .LBB105_19
.LBB105_18:                             ;   in Loop: Header=BB105_19 Depth=3
	v_lshlrev_b64 v[26:27], 3, v[26:27]
	v_mov_b32_e32 v28, s19
	v_add_co_u32_e32 v30, vcc, s18, v26
	v_addc_co_u32_e32 v31, vcc, v28, v27, vcc
	global_load_dwordx2 v[32:33], v[30:31], off
	global_load_dwordx4 v[26:29], v[22:23], off offset:-8
	v_add_co_u32_e32 v24, vcc, 8, v24
	v_addc_co_u32_e32 v25, vcc, 0, v25, vcc
	v_add_co_u32_e32 v22, vcc, 0x80, v22
	v_cmp_le_i64_e64 s[6:7], s[20:21], v[24:25]
	s_or_b64 s[36:37], s[6:7], s[36:37]
	v_addc_co_u32_e32 v23, vcc, 0, v23, vcc
	s_waitcnt vmcnt(1)
	v_cvt_f64_f32_e32 v[30:31], v32
	v_cvt_f64_f32_e32 v[32:33], v33
	s_waitcnt vmcnt(0)
	v_fmac_f64_e32 v[2:3], v[30:31], v[26:27]
	v_fmac_f64_e32 v[0:1], v[32:33], v[26:27]
	v_fma_f64 v[2:3], -v[32:33], v[28:29], v[2:3]
	v_fmac_f64_e32 v[0:1], v[30:31], v[28:29]
	s_andn2_b64 exec, exec, s[36:37]
	s_cbranch_execz .LBB105_14
.LBB105_19:                             ;   Parent Loop BB105_12 Depth=1
                                        ;     Parent Loop BB105_16 Depth=2
                                        ; =>    This Inner Loop Header: Depth=3
	s_and_b64 vcc, exec, s[24:25]
	s_cbranch_vccz .LBB105_21
; %bb.20:                               ;   in Loop: Header=BB105_19 Depth=3
	v_mov_b32_e32 v26, s40
	v_add_co_u32_e32 v27, vcc, s41, v24
	v_addc_co_u32_e32 v26, vcc, v25, v26, vcc
	v_mul_lo_u32 v28, v27, s21
	v_mul_lo_u32 v29, v26, s20
	v_mad_u64_u32 v[26:27], s[6:7], v27, s20, v[12:13]
	v_add3_u32 v27, v29, v27, v28
	s_cbranch_execnz .LBB105_18
	s_branch .LBB105_22
.LBB105_21:                             ;   in Loop: Header=BB105_19 Depth=3
                                        ; implicit-def: $vgpr26_vgpr27
.LBB105_22:                             ;   in Loop: Header=BB105_19 Depth=3
	v_add_co_u32_e32 v26, vcc, v20, v24
	v_addc_co_u32_e32 v27, vcc, v21, v25, vcc
	s_branch .LBB105_18
.LBB105_23:                             ;   in Loop: Header=BB105_12 Depth=1
	s_nop 0
	v_mov_b32_dpp v20, v2 row_shr:1 row_mask:0xf bank_mask:0xf
	v_mov_b32_dpp v21, v3 row_shr:1 row_mask:0xf bank_mask:0xf
	v_mov_b32_dpp v22, v0 row_shr:1 row_mask:0xf bank_mask:0xf
	v_mov_b32_dpp v23, v1 row_shr:1 row_mask:0xf bank_mask:0xf
	v_add_f64 v[2:3], v[2:3], v[20:21]
	v_add_f64 v[0:1], v[0:1], v[22:23]
	s_nop 0
	v_mov_b32_dpp v20, v2 row_shr:2 row_mask:0xf bank_mask:0xf
	v_mov_b32_dpp v21, v3 row_shr:2 row_mask:0xf bank_mask:0xf
	;; [unrolled: 1-line block ×4, first 2 shown]
	v_add_f64 v[2:3], v[2:3], v[20:21]
	v_add_f64 v[0:1], v[0:1], v[22:23]
	s_nop 0
	v_mov_b32_dpp v20, v2 row_shr:4 row_mask:0xf bank_mask:0xe
	v_mov_b32_dpp v21, v3 row_shr:4 row_mask:0xf bank_mask:0xe
	;; [unrolled: 1-line block ×4, first 2 shown]
	s_and_saveexec_b64 s[6:7], s[2:3]
	s_cbranch_execz .LBB105_11
; %bb.24:                               ;   in Loop: Header=BB105_12 Depth=1
	v_add_f64 v[24:25], v[2:3], v[20:21]
	v_add_f64 v[2:3], v[0:1], v[22:23]
	v_mul_f64 v[0:1], v[2:3], -v[6:7]
	v_mul_f64 v[2:3], v[4:5], v[2:3]
	v_lshlrev_b64 v[20:21], 4, v[12:13]
	v_fmac_f64_e32 v[0:1], v[4:5], v[24:25]
	v_fmac_f64_e32 v[2:3], v[6:7], v[24:25]
	s_and_saveexec_b64 s[30:31], s[26:27]
	s_xor_b64 s[30:31], exec, s[30:31]
	s_cbranch_execz .LBB105_26
; %bb.25:                               ;   in Loop: Header=BB105_12 Depth=1
	v_mov_b32_e32 v22, s33
	v_add_co_u32_e32 v20, vcc, s11, v20
	v_addc_co_u32_e32 v21, vcc, v22, v21, vcc
	global_store_dwordx4 v[20:21], v[0:3], off
                                        ; implicit-def: $vgpr20_vgpr21
                                        ; implicit-def: $vgpr0_vgpr1
.LBB105_26:                             ;   in Loop: Header=BB105_12 Depth=1
	s_andn2_saveexec_b64 s[30:31], s[30:31]
	s_cbranch_execz .LBB105_11
; %bb.27:                               ;   in Loop: Header=BB105_12 Depth=1
	v_mov_b32_e32 v22, s33
	v_add_co_u32_e32 v24, vcc, s11, v20
	v_addc_co_u32_e32 v25, vcc, v22, v21, vcc
	global_load_dwordx4 v[20:23], v[24:25], off
	s_waitcnt vmcnt(0)
	v_fmac_f64_e32 v[0:1], v[8:9], v[20:21]
	v_fmac_f64_e32 v[2:3], v[10:11], v[20:21]
	v_fma_f64 v[0:1], -v[10:11], v[22:23], v[0:1]
	v_fmac_f64_e32 v[2:3], v[8:9], v[22:23]
	global_store_dwordx4 v[24:25], v[0:3], off
	s_branch .LBB105_11
.LBB105_28:
	s_endpgm
	.section	.rodata,"a",@progbits
	.p2align	6, 0x0
	.amdhsa_kernel _ZN9rocsparseL22bsrxmvn_general_kernelILj64ELj8E21rocsparse_complex_numIdEllS1_IfES2_S2_EEv20rocsparse_direction_NS_24const_host_device_scalarIT1_EET3_PKS8_PKT2_SD_SA_PKT4_S8_PKT5_S7_PT6_21rocsparse_index_base_b
		.amdhsa_group_segment_fixed_size 1024
		.amdhsa_private_segment_fixed_size 0
		.amdhsa_kernarg_size 120
		.amdhsa_user_sgpr_count 8
		.amdhsa_user_sgpr_private_segment_buffer 1
		.amdhsa_user_sgpr_dispatch_ptr 1
		.amdhsa_user_sgpr_queue_ptr 0
		.amdhsa_user_sgpr_kernarg_segment_ptr 1
		.amdhsa_user_sgpr_dispatch_id 0
		.amdhsa_user_sgpr_flat_scratch_init 0
		.amdhsa_user_sgpr_kernarg_preload_length 0
		.amdhsa_user_sgpr_kernarg_preload_offset 0
		.amdhsa_user_sgpr_private_segment_size 0
		.amdhsa_uses_dynamic_stack 0
		.amdhsa_system_sgpr_private_segment_wavefront_offset 0
		.amdhsa_system_sgpr_workgroup_id_x 1
		.amdhsa_system_sgpr_workgroup_id_y 0
		.amdhsa_system_sgpr_workgroup_id_z 0
		.amdhsa_system_sgpr_workgroup_info 0
		.amdhsa_system_vgpr_workitem_id 2
		.amdhsa_next_free_vgpr 34
		.amdhsa_next_free_sgpr 42
		.amdhsa_accum_offset 36
		.amdhsa_reserve_vcc 1
		.amdhsa_reserve_flat_scratch 0
		.amdhsa_float_round_mode_32 0
		.amdhsa_float_round_mode_16_64 0
		.amdhsa_float_denorm_mode_32 3
		.amdhsa_float_denorm_mode_16_64 3
		.amdhsa_dx10_clamp 1
		.amdhsa_ieee_mode 1
		.amdhsa_fp16_overflow 0
		.amdhsa_tg_split 0
		.amdhsa_exception_fp_ieee_invalid_op 0
		.amdhsa_exception_fp_denorm_src 0
		.amdhsa_exception_fp_ieee_div_zero 0
		.amdhsa_exception_fp_ieee_overflow 0
		.amdhsa_exception_fp_ieee_underflow 0
		.amdhsa_exception_fp_ieee_inexact 0
		.amdhsa_exception_int_div_zero 0
	.end_amdhsa_kernel
	.section	.text._ZN9rocsparseL22bsrxmvn_general_kernelILj64ELj8E21rocsparse_complex_numIdEllS1_IfES2_S2_EEv20rocsparse_direction_NS_24const_host_device_scalarIT1_EET3_PKS8_PKT2_SD_SA_PKT4_S8_PKT5_S7_PT6_21rocsparse_index_base_b,"axG",@progbits,_ZN9rocsparseL22bsrxmvn_general_kernelILj64ELj8E21rocsparse_complex_numIdEllS1_IfES2_S2_EEv20rocsparse_direction_NS_24const_host_device_scalarIT1_EET3_PKS8_PKT2_SD_SA_PKT4_S8_PKT5_S7_PT6_21rocsparse_index_base_b,comdat
.Lfunc_end105:
	.size	_ZN9rocsparseL22bsrxmvn_general_kernelILj64ELj8E21rocsparse_complex_numIdEllS1_IfES2_S2_EEv20rocsparse_direction_NS_24const_host_device_scalarIT1_EET3_PKS8_PKT2_SD_SA_PKT4_S8_PKT5_S7_PT6_21rocsparse_index_base_b, .Lfunc_end105-_ZN9rocsparseL22bsrxmvn_general_kernelILj64ELj8E21rocsparse_complex_numIdEllS1_IfES2_S2_EEv20rocsparse_direction_NS_24const_host_device_scalarIT1_EET3_PKS8_PKT2_SD_SA_PKT4_S8_PKT5_S7_PT6_21rocsparse_index_base_b
                                        ; -- End function
	.section	.AMDGPU.csdata,"",@progbits
; Kernel info:
; codeLenInByte = 1484
; NumSgprs: 46
; NumVgprs: 34
; NumAgprs: 0
; TotalNumVgprs: 34
; ScratchSize: 0
; MemoryBound: 0
; FloatMode: 240
; IeeeMode: 1
; LDSByteSize: 1024 bytes/workgroup (compile time only)
; SGPRBlocks: 5
; VGPRBlocks: 4
; NumSGPRsForWavesPerEU: 46
; NumVGPRsForWavesPerEU: 34
; AccumOffset: 36
; Occupancy: 8
; WaveLimiterHint : 1
; COMPUTE_PGM_RSRC2:SCRATCH_EN: 0
; COMPUTE_PGM_RSRC2:USER_SGPR: 8
; COMPUTE_PGM_RSRC2:TRAP_HANDLER: 0
; COMPUTE_PGM_RSRC2:TGID_X_EN: 1
; COMPUTE_PGM_RSRC2:TGID_Y_EN: 0
; COMPUTE_PGM_RSRC2:TGID_Z_EN: 0
; COMPUTE_PGM_RSRC2:TIDIG_COMP_CNT: 2
; COMPUTE_PGM_RSRC3_GFX90A:ACCUM_OFFSET: 8
; COMPUTE_PGM_RSRC3_GFX90A:TG_SPLIT: 0
	.section	.text._ZN9rocsparseL22bsrxmvn_general_kernelILj256ELj16E21rocsparse_complex_numIdEllS1_IfES2_S2_EEv20rocsparse_direction_NS_24const_host_device_scalarIT1_EET3_PKS8_PKT2_SD_SA_PKT4_S8_PKT5_S7_PT6_21rocsparse_index_base_b,"axG",@progbits,_ZN9rocsparseL22bsrxmvn_general_kernelILj256ELj16E21rocsparse_complex_numIdEllS1_IfES2_S2_EEv20rocsparse_direction_NS_24const_host_device_scalarIT1_EET3_PKS8_PKT2_SD_SA_PKT4_S8_PKT5_S7_PT6_21rocsparse_index_base_b,comdat
	.globl	_ZN9rocsparseL22bsrxmvn_general_kernelILj256ELj16E21rocsparse_complex_numIdEllS1_IfES2_S2_EEv20rocsparse_direction_NS_24const_host_device_scalarIT1_EET3_PKS8_PKT2_SD_SA_PKT4_S8_PKT5_S7_PT6_21rocsparse_index_base_b ; -- Begin function _ZN9rocsparseL22bsrxmvn_general_kernelILj256ELj16E21rocsparse_complex_numIdEllS1_IfES2_S2_EEv20rocsparse_direction_NS_24const_host_device_scalarIT1_EET3_PKS8_PKT2_SD_SA_PKT4_S8_PKT5_S7_PT6_21rocsparse_index_base_b
	.p2align	8
	.type	_ZN9rocsparseL22bsrxmvn_general_kernelILj256ELj16E21rocsparse_complex_numIdEllS1_IfES2_S2_EEv20rocsparse_direction_NS_24const_host_device_scalarIT1_EET3_PKS8_PKT2_SD_SA_PKT4_S8_PKT5_S7_PT6_21rocsparse_index_base_b,@function
_ZN9rocsparseL22bsrxmvn_general_kernelILj256ELj16E21rocsparse_complex_numIdEllS1_IfES2_S2_EEv20rocsparse_direction_NS_24const_host_device_scalarIT1_EET3_PKS8_PKT2_SD_SA_PKT4_S8_PKT5_S7_PT6_21rocsparse_index_base_b: ; @_ZN9rocsparseL22bsrxmvn_general_kernelILj256ELj16E21rocsparse_complex_numIdEllS1_IfES2_S2_EEv20rocsparse_direction_NS_24const_host_device_scalarIT1_EET3_PKS8_PKT2_SD_SA_PKT4_S8_PKT5_S7_PT6_21rocsparse_index_base_b
; %bb.0:
	s_load_dwordx2 s[10:11], s[6:7], 0x70
	s_load_dwordx4 s[12:15], s[6:7], 0x8
	s_load_dwordx2 s[20:21], s[4:5], 0x4
	s_load_dwordx4 s[16:19], s[6:7], 0x58
	s_mov_b64 s[2:3], src_shared_base
	v_and_b32_e32 v1, 0x3ff, v0
	s_waitcnt lgkmcnt(0)
	s_bitcmp1_b32 s11, 0
	s_cselect_b64 s[0:1], -1, 0
	s_and_b64 vcc, s[0:1], exec
	s_cselect_b32 s2, s3, s13
	s_lshr_b32 s4, s20, 16
	s_mul_i32 s4, s4, s21
	v_mul_lo_u32 v2, s4, v1
	v_bfe_u32 v3, v0, 10, 10
	v_mad_u32_u24 v2, v3, s21, v2
	v_bfe_u32 v0, v0, 20, 10
	v_add_lshl_u32 v0, v2, v0, 3
	v_mov_b32_e32 v6, s12
	v_add_u32_e32 v7, 0x800, v0
	v_pk_mov_b32 v[2:3], s[12:13], s[12:13] op_sel:[0,1]
	v_pk_mov_b32 v[4:5], s[16:17], s[16:17] op_sel:[0,1]
	ds_write2st64_b64 v0, v[4:5], v[2:3] offset1:4
	v_cndmask_b32_e64 v2, v6, v7, s[0:1]
	v_mov_b32_e32 v3, s2
	flat_load_dwordx2 v[4:5], v[2:3]
	s_xor_b64 s[4:5], s[0:1], -1
	v_pk_mov_b32 v[6:7], s[14:15], s[14:15] op_sel:[0,1]
	s_cbranch_vccnz .LBB106_2
; %bb.1:
	v_pk_mov_b32 v[2:3], s[12:13], s[12:13] op_sel:[0,1]
	flat_load_dwordx2 v[6:7], v[2:3] offset:8
.LBB106_2:
	s_and_b64 s[12:13], s[0:1], exec
	s_cselect_b32 s2, s3, s17
	v_mov_b32_e32 v2, s16
	v_cndmask_b32_e64 v2, v2, v0, s[0:1]
	v_mov_b32_e32 v3, s2
	flat_load_dwordx2 v[8:9], v[2:3]
	s_andn2_b64 vcc, exec, s[4:5]
	v_pk_mov_b32 v[10:11], s[18:19], s[18:19] op_sel:[0,1]
	s_cbranch_vccnz .LBB106_4
; %bb.3:
	v_pk_mov_b32 v[2:3], s[16:17], s[16:17] op_sel:[0,1]
	flat_load_dwordx2 v[10:11], v[2:3] offset:8
.LBB106_4:
	s_waitcnt vmcnt(0) lgkmcnt(0)
	v_cmp_eq_f64_e32 vcc, 0, v[4:5]
	v_cmp_eq_f64_e64 s[0:1], 0, v[6:7]
	s_and_b64 s[4:5], vcc, s[0:1]
	s_mov_b64 s[0:1], -1
	s_and_saveexec_b64 s[2:3], s[4:5]
; %bb.5:
	v_cmp_neq_f64_e32 vcc, 1.0, v[8:9]
	v_cmp_neq_f64_e64 s[0:1], 0, v[10:11]
	s_or_b64 s[0:1], vcc, s[0:1]
	s_orn2_b64 s[0:1], s[0:1], exec
; %bb.6:
	s_or_b64 exec, exec, s[2:3]
	s_and_saveexec_b64 s[2:3], s[0:1]
	s_cbranch_execz .LBB106_28
; %bb.7:
	s_load_dwordx2 s[0:1], s[6:7], 0x20
	s_mov_b32 s9, 0
	s_waitcnt lgkmcnt(0)
	s_cmp_eq_u64 s[0:1], 0
	s_cbranch_scc1 .LBB106_9
; %bb.8:
	s_lshl_b64 s[2:3], s[8:9], 3
	s_add_u32 s0, s0, s2
	s_addc_u32 s1, s1, s3
	s_load_dwordx2 s[0:1], s[0:1], 0x0
	s_waitcnt lgkmcnt(0)
	s_sub_u32 s8, s0, s10
	s_subb_u32 s9, s1, 0
.LBB106_9:
	s_load_dwordx2 s[20:21], s[6:7], 0x48
	v_lshrrev_b32_e32 v12, 4, v1
	v_mov_b32_e32 v13, 0
	s_waitcnt lgkmcnt(0)
	v_cmp_gt_i64_e32 vcc, s[20:21], v[12:13]
	s_and_b64 exec, exec, vcc
	s_cbranch_execz .LBB106_28
; %bb.10:
	s_load_dwordx8 s[12:19], s[6:7], 0x28
	s_lshl_b64 s[0:1], s[8:9], 3
	v_and_b32_e32 v14, 15, v1
	v_cmp_eq_f64_e32 vcc, 0, v[8:9]
	v_lshlrev_b32_e32 v2, 4, v14
	s_waitcnt lgkmcnt(0)
	s_add_u32 s2, s12, s0
	s_addc_u32 s3, s13, s1
	s_load_dwordx2 s[28:29], s[2:3], 0x0
	s_load_dwordx2 s[30:31], s[6:7], 0x68
	;; [unrolled: 1-line block ×3, first 2 shown]
	v_mov_b32_e32 v15, v13
	s_mov_b64 s[12:13], 0
	s_waitcnt lgkmcnt(0)
	s_sub_u32 s22, s28, s10
	s_subb_u32 s23, s29, 0
	s_add_u32 s2, s2, 8
	s_addc_u32 s3, s3, 0
	s_add_u32 s0, s14, s0
	s_addc_u32 s1, s15, s1
	s_cmp_eq_u64 s[14:15], 0
	s_cselect_b32 s1, s3, s1
	s_cselect_b32 s0, s2, s0
	s_load_dwordx2 s[4:5], s[0:1], 0x0
	s_load_dword s11, s[6:7], 0x0
	v_mov_b32_e32 v3, s35
	v_cmp_gt_u64_e64 s[0:1], s[20:21], v[14:15]
	v_cmp_eq_u32_e64 s[2:3], 15, v14
	s_waitcnt lgkmcnt(0)
	s_sub_u32 s14, s4, s10
	s_subb_u32 s15, s5, 0
	v_pk_mov_b32 v[0:1], s[4:5], s[4:5] op_sel:[0,1]
	s_cmp_lg_u32 s11, 0
	v_cmp_eq_f64_e64 s[4:5], 0, v[10:11]
	s_cselect_b64 s[24:25], -1, 0
	s_and_b64 s[26:27], vcc, s[4:5]
	s_mul_i32 s4, s8, s21
	s_mul_hi_u32 s5, s8, s20
	s_add_i32 s4, s5, s4
	s_mul_i32 s5, s9, s20
	s_add_i32 s5, s4, s5
	s_mul_i32 s4, s8, s20
	s_lshl_b64 s[4:5], s[4:5], 4
	v_add_co_u32_e32 v2, vcc, s34, v2
	s_add_u32 s11, s30, s4
	v_addc_co_u32_e32 v3, vcc, 0, v3, vcc
	s_addc_u32 s33, s31, s5
	v_add_co_u32_e32 v16, vcc, 8, v2
	s_mul_i32 s4, s21, s22
	s_mul_i32 s5, s20, s23
	v_mov_b32_e32 v2, s22
	v_addc_co_u32_e32 v17, vcc, 0, v3, vcc
	s_add_i32 s6, s5, s4
	v_mad_u64_u32 v[2:3], s[4:5], s20, v2, v[12:13]
	v_mad_u64_u32 v[18:19], s[4:5], s20, v2, 0
	v_add_u32_e32 v3, s6, v3
	s_mul_i32 s4, s20, s21
	s_mul_hi_u32 s5, s20, s20
	v_cmp_lt_i64_e32 vcc, s[28:29], v[0:1]
	v_mul_lo_u32 v3, s20, v3
	v_mul_lo_u32 v20, s21, v2
	s_add_i32 s5, s5, s4
	v_cndmask_b32_e64 v0, 0, 1, vcc
	s_lshl_b64 s[8:9], s[20:21], 4
	v_add3_u32 v19, v19, v3, v20
	s_add_i32 s36, s5, s4
	s_mul_i32 s37, s20, s20
	v_cmp_ne_u32_e64 s[4:5], 1, v0
	s_branch .LBB106_12
.LBB106_11:                             ;   in Loop: Header=BB106_12 Depth=1
	s_or_b64 exec, exec, s[6:7]
	v_add_co_u32_e32 v12, vcc, 16, v12
	v_addc_co_u32_e32 v13, vcc, 0, v13, vcc
	v_cmp_le_i64_e32 vcc, s[20:21], v[12:13]
	v_mov_b32_e32 v0, s9
	s_or_b64 s[12:13], vcc, s[12:13]
	v_add_co_u32_e32 v18, vcc, s8, v18
	v_addc_co_u32_e32 v19, vcc, v19, v0, vcc
	s_andn2_b64 exec, exec, s[12:13]
	s_cbranch_execz .LBB106_28
.LBB106_12:                             ; =>This Loop Header: Depth=1
                                        ;     Child Loop BB106_16 Depth 2
                                        ;       Child Loop BB106_19 Depth 3
	v_pk_mov_b32 v[0:1], 0, 0
	s_and_b64 vcc, exec, s[4:5]
	v_pk_mov_b32 v[2:3], v[0:1], v[0:1] op_sel:[0,1]
	s_cbranch_vccnz .LBB106_23
; %bb.13:                               ;   in Loop: Header=BB106_12 Depth=1
	v_pk_mov_b32 v[0:1], 0, 0
	v_pk_mov_b32 v[20:21], v[18:19], v[18:19] op_sel:[0,1]
	s_mov_b64 s[28:29], s[22:23]
	v_pk_mov_b32 v[2:3], v[0:1], v[0:1] op_sel:[0,1]
	s_branch .LBB106_16
.LBB106_14:                             ;   in Loop: Header=BB106_16 Depth=2
	s_or_b64 exec, exec, s[34:35]
.LBB106_15:                             ;   in Loop: Header=BB106_16 Depth=2
	s_or_b64 exec, exec, s[30:31]
	s_add_u32 s28, s28, 1
	v_mov_b32_e32 v22, s36
	v_add_co_u32_e32 v20, vcc, s37, v20
	s_addc_u32 s29, s29, 0
	v_addc_co_u32_e32 v21, vcc, v21, v22, vcc
	v_pk_mov_b32 v[22:23], s[14:15], s[14:15] op_sel:[0,1]
	v_cmp_ge_i64_e32 vcc, s[28:29], v[22:23]
	s_cbranch_vccnz .LBB106_23
.LBB106_16:                             ;   Parent Loop BB106_12 Depth=1
                                        ; =>  This Loop Header: Depth=2
                                        ;       Child Loop BB106_19 Depth 3
	s_and_saveexec_b64 s[30:31], s[0:1]
	s_cbranch_execz .LBB106_15
; %bb.17:                               ;   in Loop: Header=BB106_16 Depth=2
	s_lshl_b64 s[6:7], s[28:29], 3
	s_add_u32 s6, s16, s6
	s_addc_u32 s7, s17, s7
	s_load_dwordx2 s[6:7], s[6:7], 0x0
	s_mul_i32 s34, s28, s21
	s_mul_hi_u32 s35, s28, s20
	s_mul_i32 s38, s29, s20
	s_mul_i32 s39, s28, s20
	s_waitcnt lgkmcnt(0)
	s_sub_u32 s6, s6, s10
	s_subb_u32 s7, s7, 0
	s_add_i32 s34, s35, s34
	s_add_i32 s38, s34, s38
	s_mul_i32 s34, s9, s6
	s_mul_i32 s7, s8, s7
	v_mov_b32_e32 v22, s6
	s_add_i32 s34, s7, s34
	v_mad_u64_u32 v[22:23], s[6:7], s8, v22, v[16:17]
	v_add_u32_e32 v23, s34, v23
	s_mov_b64 s[34:35], 0
	v_pk_mov_b32 v[24:25], v[14:15], v[14:15] op_sel:[0,1]
	s_branch .LBB106_19
.LBB106_18:                             ;   in Loop: Header=BB106_19 Depth=3
	v_lshlrev_b64 v[26:27], 3, v[26:27]
	v_mov_b32_e32 v28, s19
	v_add_co_u32_e32 v30, vcc, s18, v26
	v_addc_co_u32_e32 v31, vcc, v28, v27, vcc
	global_load_dwordx2 v[32:33], v[30:31], off
	global_load_dwordx4 v[26:29], v[22:23], off offset:-8
	v_add_co_u32_e32 v24, vcc, 16, v24
	v_addc_co_u32_e32 v25, vcc, 0, v25, vcc
	v_add_co_u32_e32 v22, vcc, 0x100, v22
	v_cmp_le_i64_e64 s[6:7], s[20:21], v[24:25]
	s_or_b64 s[34:35], s[6:7], s[34:35]
	v_addc_co_u32_e32 v23, vcc, 0, v23, vcc
	s_waitcnt vmcnt(1)
	v_cvt_f64_f32_e32 v[30:31], v32
	v_cvt_f64_f32_e32 v[32:33], v33
	s_waitcnt vmcnt(0)
	v_fmac_f64_e32 v[2:3], v[30:31], v[26:27]
	v_fmac_f64_e32 v[0:1], v[32:33], v[26:27]
	v_fma_f64 v[2:3], -v[32:33], v[28:29], v[2:3]
	v_fmac_f64_e32 v[0:1], v[30:31], v[28:29]
	s_andn2_b64 exec, exec, s[34:35]
	s_cbranch_execz .LBB106_14
.LBB106_19:                             ;   Parent Loop BB106_12 Depth=1
                                        ;     Parent Loop BB106_16 Depth=2
                                        ; =>    This Inner Loop Header: Depth=3
	s_and_b64 vcc, exec, s[24:25]
	s_cbranch_vccz .LBB106_21
; %bb.20:                               ;   in Loop: Header=BB106_19 Depth=3
	v_mov_b32_e32 v26, s38
	v_add_co_u32_e32 v27, vcc, s39, v24
	v_addc_co_u32_e32 v26, vcc, v25, v26, vcc
	v_mul_lo_u32 v28, v27, s21
	v_mul_lo_u32 v29, v26, s20
	v_mad_u64_u32 v[26:27], s[6:7], v27, s20, v[12:13]
	v_add3_u32 v27, v29, v27, v28
	s_cbranch_execnz .LBB106_18
	s_branch .LBB106_22
.LBB106_21:                             ;   in Loop: Header=BB106_19 Depth=3
                                        ; implicit-def: $vgpr26_vgpr27
.LBB106_22:                             ;   in Loop: Header=BB106_19 Depth=3
	v_add_co_u32_e32 v26, vcc, v20, v24
	v_addc_co_u32_e32 v27, vcc, v21, v25, vcc
	s_branch .LBB106_18
.LBB106_23:                             ;   in Loop: Header=BB106_12 Depth=1
	s_nop 0
	v_mov_b32_dpp v20, v2 row_shr:1 row_mask:0xf bank_mask:0xf
	v_mov_b32_dpp v21, v3 row_shr:1 row_mask:0xf bank_mask:0xf
	v_mov_b32_dpp v22, v0 row_shr:1 row_mask:0xf bank_mask:0xf
	v_mov_b32_dpp v23, v1 row_shr:1 row_mask:0xf bank_mask:0xf
	v_add_f64 v[2:3], v[2:3], v[20:21]
	v_add_f64 v[0:1], v[0:1], v[22:23]
	s_nop 0
	v_mov_b32_dpp v20, v2 row_shr:2 row_mask:0xf bank_mask:0xf
	v_mov_b32_dpp v21, v3 row_shr:2 row_mask:0xf bank_mask:0xf
	v_mov_b32_dpp v22, v0 row_shr:2 row_mask:0xf bank_mask:0xf
	v_mov_b32_dpp v23, v1 row_shr:2 row_mask:0xf bank_mask:0xf
	v_add_f64 v[2:3], v[2:3], v[20:21]
	v_add_f64 v[0:1], v[0:1], v[22:23]
	;; [unrolled: 7-line block ×3, first 2 shown]
	s_nop 0
	v_mov_b32_dpp v20, v2 row_shr:8 row_mask:0xf bank_mask:0xc
	v_mov_b32_dpp v21, v3 row_shr:8 row_mask:0xf bank_mask:0xc
	v_mov_b32_dpp v22, v0 row_shr:8 row_mask:0xf bank_mask:0xc
	v_mov_b32_dpp v23, v1 row_shr:8 row_mask:0xf bank_mask:0xc
	s_and_saveexec_b64 s[6:7], s[2:3]
	s_cbranch_execz .LBB106_11
; %bb.24:                               ;   in Loop: Header=BB106_12 Depth=1
	v_add_f64 v[24:25], v[2:3], v[20:21]
	v_add_f64 v[2:3], v[0:1], v[22:23]
	v_mul_f64 v[0:1], v[2:3], -v[6:7]
	v_mul_f64 v[2:3], v[4:5], v[2:3]
	v_lshlrev_b64 v[20:21], 4, v[12:13]
	v_fmac_f64_e32 v[0:1], v[4:5], v[24:25]
	v_fmac_f64_e32 v[2:3], v[6:7], v[24:25]
	s_and_saveexec_b64 s[28:29], s[26:27]
	s_xor_b64 s[28:29], exec, s[28:29]
	s_cbranch_execz .LBB106_26
; %bb.25:                               ;   in Loop: Header=BB106_12 Depth=1
	v_mov_b32_e32 v22, s33
	v_add_co_u32_e32 v20, vcc, s11, v20
	v_addc_co_u32_e32 v21, vcc, v22, v21, vcc
	global_store_dwordx4 v[20:21], v[0:3], off
                                        ; implicit-def: $vgpr20_vgpr21
                                        ; implicit-def: $vgpr0_vgpr1
.LBB106_26:                             ;   in Loop: Header=BB106_12 Depth=1
	s_andn2_saveexec_b64 s[28:29], s[28:29]
	s_cbranch_execz .LBB106_11
; %bb.27:                               ;   in Loop: Header=BB106_12 Depth=1
	v_mov_b32_e32 v22, s33
	v_add_co_u32_e32 v24, vcc, s11, v20
	v_addc_co_u32_e32 v25, vcc, v22, v21, vcc
	global_load_dwordx4 v[20:23], v[24:25], off
	s_waitcnt vmcnt(0)
	v_fmac_f64_e32 v[0:1], v[8:9], v[20:21]
	v_fmac_f64_e32 v[2:3], v[10:11], v[20:21]
	v_fma_f64 v[0:1], -v[10:11], v[22:23], v[0:1]
	v_fmac_f64_e32 v[2:3], v[8:9], v[22:23]
	global_store_dwordx4 v[24:25], v[0:3], off
	s_branch .LBB106_11
.LBB106_28:
	s_endpgm
	.section	.rodata,"a",@progbits
	.p2align	6, 0x0
	.amdhsa_kernel _ZN9rocsparseL22bsrxmvn_general_kernelILj256ELj16E21rocsparse_complex_numIdEllS1_IfES2_S2_EEv20rocsparse_direction_NS_24const_host_device_scalarIT1_EET3_PKS8_PKT2_SD_SA_PKT4_S8_PKT5_S7_PT6_21rocsparse_index_base_b
		.amdhsa_group_segment_fixed_size 4096
		.amdhsa_private_segment_fixed_size 0
		.amdhsa_kernarg_size 120
		.amdhsa_user_sgpr_count 8
		.amdhsa_user_sgpr_private_segment_buffer 1
		.amdhsa_user_sgpr_dispatch_ptr 1
		.amdhsa_user_sgpr_queue_ptr 0
		.amdhsa_user_sgpr_kernarg_segment_ptr 1
		.amdhsa_user_sgpr_dispatch_id 0
		.amdhsa_user_sgpr_flat_scratch_init 0
		.amdhsa_user_sgpr_kernarg_preload_length 0
		.amdhsa_user_sgpr_kernarg_preload_offset 0
		.amdhsa_user_sgpr_private_segment_size 0
		.amdhsa_uses_dynamic_stack 0
		.amdhsa_system_sgpr_private_segment_wavefront_offset 0
		.amdhsa_system_sgpr_workgroup_id_x 1
		.amdhsa_system_sgpr_workgroup_id_y 0
		.amdhsa_system_sgpr_workgroup_id_z 0
		.amdhsa_system_sgpr_workgroup_info 0
		.amdhsa_system_vgpr_workitem_id 2
		.amdhsa_next_free_vgpr 34
		.amdhsa_next_free_sgpr 40
		.amdhsa_accum_offset 36
		.amdhsa_reserve_vcc 1
		.amdhsa_reserve_flat_scratch 0
		.amdhsa_float_round_mode_32 0
		.amdhsa_float_round_mode_16_64 0
		.amdhsa_float_denorm_mode_32 3
		.amdhsa_float_denorm_mode_16_64 3
		.amdhsa_dx10_clamp 1
		.amdhsa_ieee_mode 1
		.amdhsa_fp16_overflow 0
		.amdhsa_tg_split 0
		.amdhsa_exception_fp_ieee_invalid_op 0
		.amdhsa_exception_fp_denorm_src 0
		.amdhsa_exception_fp_ieee_div_zero 0
		.amdhsa_exception_fp_ieee_overflow 0
		.amdhsa_exception_fp_ieee_underflow 0
		.amdhsa_exception_fp_ieee_inexact 0
		.amdhsa_exception_int_div_zero 0
	.end_amdhsa_kernel
	.section	.text._ZN9rocsparseL22bsrxmvn_general_kernelILj256ELj16E21rocsparse_complex_numIdEllS1_IfES2_S2_EEv20rocsparse_direction_NS_24const_host_device_scalarIT1_EET3_PKS8_PKT2_SD_SA_PKT4_S8_PKT5_S7_PT6_21rocsparse_index_base_b,"axG",@progbits,_ZN9rocsparseL22bsrxmvn_general_kernelILj256ELj16E21rocsparse_complex_numIdEllS1_IfES2_S2_EEv20rocsparse_direction_NS_24const_host_device_scalarIT1_EET3_PKS8_PKT2_SD_SA_PKT4_S8_PKT5_S7_PT6_21rocsparse_index_base_b,comdat
.Lfunc_end106:
	.size	_ZN9rocsparseL22bsrxmvn_general_kernelILj256ELj16E21rocsparse_complex_numIdEllS1_IfES2_S2_EEv20rocsparse_direction_NS_24const_host_device_scalarIT1_EET3_PKS8_PKT2_SD_SA_PKT4_S8_PKT5_S7_PT6_21rocsparse_index_base_b, .Lfunc_end106-_ZN9rocsparseL22bsrxmvn_general_kernelILj256ELj16E21rocsparse_complex_numIdEllS1_IfES2_S2_EEv20rocsparse_direction_NS_24const_host_device_scalarIT1_EET3_PKS8_PKT2_SD_SA_PKT4_S8_PKT5_S7_PT6_21rocsparse_index_base_b
                                        ; -- End function
	.section	.AMDGPU.csdata,"",@progbits
; Kernel info:
; codeLenInByte = 1536
; NumSgprs: 44
; NumVgprs: 34
; NumAgprs: 0
; TotalNumVgprs: 34
; ScratchSize: 0
; MemoryBound: 0
; FloatMode: 240
; IeeeMode: 1
; LDSByteSize: 4096 bytes/workgroup (compile time only)
; SGPRBlocks: 5
; VGPRBlocks: 4
; NumSGPRsForWavesPerEU: 44
; NumVGPRsForWavesPerEU: 34
; AccumOffset: 36
; Occupancy: 8
; WaveLimiterHint : 1
; COMPUTE_PGM_RSRC2:SCRATCH_EN: 0
; COMPUTE_PGM_RSRC2:USER_SGPR: 8
; COMPUTE_PGM_RSRC2:TRAP_HANDLER: 0
; COMPUTE_PGM_RSRC2:TGID_X_EN: 1
; COMPUTE_PGM_RSRC2:TGID_Y_EN: 0
; COMPUTE_PGM_RSRC2:TGID_Z_EN: 0
; COMPUTE_PGM_RSRC2:TIDIG_COMP_CNT: 2
; COMPUTE_PGM_RSRC3_GFX90A:ACCUM_OFFSET: 8
; COMPUTE_PGM_RSRC3_GFX90A:TG_SPLIT: 0
	.section	.text._ZN9rocsparseL22bsrxmvn_general_kernelILj1024ELj32E21rocsparse_complex_numIdEllS1_IfES2_S2_EEv20rocsparse_direction_NS_24const_host_device_scalarIT1_EET3_PKS8_PKT2_SD_SA_PKT4_S8_PKT5_S7_PT6_21rocsparse_index_base_b,"axG",@progbits,_ZN9rocsparseL22bsrxmvn_general_kernelILj1024ELj32E21rocsparse_complex_numIdEllS1_IfES2_S2_EEv20rocsparse_direction_NS_24const_host_device_scalarIT1_EET3_PKS8_PKT2_SD_SA_PKT4_S8_PKT5_S7_PT6_21rocsparse_index_base_b,comdat
	.globl	_ZN9rocsparseL22bsrxmvn_general_kernelILj1024ELj32E21rocsparse_complex_numIdEllS1_IfES2_S2_EEv20rocsparse_direction_NS_24const_host_device_scalarIT1_EET3_PKS8_PKT2_SD_SA_PKT4_S8_PKT5_S7_PT6_21rocsparse_index_base_b ; -- Begin function _ZN9rocsparseL22bsrxmvn_general_kernelILj1024ELj32E21rocsparse_complex_numIdEllS1_IfES2_S2_EEv20rocsparse_direction_NS_24const_host_device_scalarIT1_EET3_PKS8_PKT2_SD_SA_PKT4_S8_PKT5_S7_PT6_21rocsparse_index_base_b
	.p2align	8
	.type	_ZN9rocsparseL22bsrxmvn_general_kernelILj1024ELj32E21rocsparse_complex_numIdEllS1_IfES2_S2_EEv20rocsparse_direction_NS_24const_host_device_scalarIT1_EET3_PKS8_PKT2_SD_SA_PKT4_S8_PKT5_S7_PT6_21rocsparse_index_base_b,@function
_ZN9rocsparseL22bsrxmvn_general_kernelILj1024ELj32E21rocsparse_complex_numIdEllS1_IfES2_S2_EEv20rocsparse_direction_NS_24const_host_device_scalarIT1_EET3_PKS8_PKT2_SD_SA_PKT4_S8_PKT5_S7_PT6_21rocsparse_index_base_b: ; @_ZN9rocsparseL22bsrxmvn_general_kernelILj1024ELj32E21rocsparse_complex_numIdEllS1_IfES2_S2_EEv20rocsparse_direction_NS_24const_host_device_scalarIT1_EET3_PKS8_PKT2_SD_SA_PKT4_S8_PKT5_S7_PT6_21rocsparse_index_base_b
; %bb.0:
	s_load_dwordx2 s[10:11], s[6:7], 0x70
	s_load_dwordx4 s[12:15], s[6:7], 0x8
	s_load_dwordx2 s[20:21], s[4:5], 0x4
	s_load_dwordx4 s[16:19], s[6:7], 0x58
	s_mov_b64 s[2:3], src_shared_base
	v_and_b32_e32 v1, 0x3ff, v0
	s_waitcnt lgkmcnt(0)
	s_bitcmp1_b32 s11, 0
	s_cselect_b64 s[0:1], -1, 0
	s_and_b64 vcc, s[0:1], exec
	s_cselect_b32 s2, s3, s13
	s_lshr_b32 s4, s20, 16
	s_mul_i32 s4, s4, s21
	v_mul_lo_u32 v2, s4, v1
	v_bfe_u32 v3, v0, 10, 10
	v_mad_u32_u24 v2, v3, s21, v2
	v_bfe_u32 v0, v0, 20, 10
	v_add_lshl_u32 v0, v2, v0, 3
	v_mov_b32_e32 v6, s12
	v_add_u32_e32 v7, 0x2000, v0
	v_pk_mov_b32 v[2:3], s[12:13], s[12:13] op_sel:[0,1]
	v_pk_mov_b32 v[4:5], s[16:17], s[16:17] op_sel:[0,1]
	ds_write2st64_b64 v0, v[4:5], v[2:3] offset1:16
	v_cndmask_b32_e64 v2, v6, v7, s[0:1]
	v_mov_b32_e32 v3, s2
	flat_load_dwordx2 v[4:5], v[2:3]
	s_xor_b64 s[4:5], s[0:1], -1
	v_pk_mov_b32 v[6:7], s[14:15], s[14:15] op_sel:[0,1]
	s_cbranch_vccnz .LBB107_2
; %bb.1:
	v_pk_mov_b32 v[2:3], s[12:13], s[12:13] op_sel:[0,1]
	flat_load_dwordx2 v[6:7], v[2:3] offset:8
.LBB107_2:
	s_and_b64 s[12:13], s[0:1], exec
	s_cselect_b32 s2, s3, s17
	v_mov_b32_e32 v2, s16
	v_cndmask_b32_e64 v2, v2, v0, s[0:1]
	v_mov_b32_e32 v3, s2
	flat_load_dwordx2 v[8:9], v[2:3]
	s_andn2_b64 vcc, exec, s[4:5]
	v_pk_mov_b32 v[10:11], s[18:19], s[18:19] op_sel:[0,1]
	s_cbranch_vccnz .LBB107_4
; %bb.3:
	v_pk_mov_b32 v[2:3], s[16:17], s[16:17] op_sel:[0,1]
	flat_load_dwordx2 v[10:11], v[2:3] offset:8
.LBB107_4:
	s_waitcnt vmcnt(0) lgkmcnt(0)
	v_cmp_eq_f64_e32 vcc, 0, v[4:5]
	v_cmp_eq_f64_e64 s[0:1], 0, v[6:7]
	s_and_b64 s[4:5], vcc, s[0:1]
	s_mov_b64 s[0:1], -1
	s_and_saveexec_b64 s[2:3], s[4:5]
; %bb.5:
	v_cmp_neq_f64_e32 vcc, 1.0, v[8:9]
	v_cmp_neq_f64_e64 s[0:1], 0, v[10:11]
	s_or_b64 s[0:1], vcc, s[0:1]
	s_orn2_b64 s[0:1], s[0:1], exec
; %bb.6:
	s_or_b64 exec, exec, s[2:3]
	s_and_saveexec_b64 s[2:3], s[0:1]
	s_cbranch_execz .LBB107_28
; %bb.7:
	s_load_dwordx2 s[0:1], s[6:7], 0x20
	s_mov_b32 s9, 0
	s_waitcnt lgkmcnt(0)
	s_cmp_eq_u64 s[0:1], 0
	s_cbranch_scc1 .LBB107_9
; %bb.8:
	s_lshl_b64 s[2:3], s[8:9], 3
	s_add_u32 s0, s0, s2
	s_addc_u32 s1, s1, s3
	s_load_dwordx2 s[0:1], s[0:1], 0x0
	s_waitcnt lgkmcnt(0)
	s_sub_u32 s8, s0, s10
	s_subb_u32 s9, s1, 0
.LBB107_9:
	s_load_dwordx2 s[20:21], s[6:7], 0x48
	v_lshrrev_b32_e32 v12, 5, v1
	v_mov_b32_e32 v13, 0
	s_waitcnt lgkmcnt(0)
	v_cmp_gt_i64_e32 vcc, s[20:21], v[12:13]
	s_and_b64 exec, exec, vcc
	s_cbranch_execz .LBB107_28
; %bb.10:
	s_load_dwordx8 s[12:19], s[6:7], 0x28
	s_lshl_b64 s[0:1], s[8:9], 3
	v_and_b32_e32 v14, 31, v1
	v_cmp_eq_f64_e32 vcc, 0, v[8:9]
	v_lshlrev_b32_e32 v2, 4, v14
	s_waitcnt lgkmcnt(0)
	s_add_u32 s2, s12, s0
	s_addc_u32 s3, s13, s1
	s_load_dwordx2 s[30:31], s[2:3], 0x0
	s_load_dwordx2 s[28:29], s[6:7], 0x68
	;; [unrolled: 1-line block ×3, first 2 shown]
	v_mov_b32_e32 v15, v13
	s_mov_b64 s[12:13], 0
	s_waitcnt lgkmcnt(0)
	s_sub_u32 s22, s30, s10
	s_subb_u32 s23, s31, 0
	s_add_u32 s2, s2, 8
	s_addc_u32 s3, s3, 0
	s_add_u32 s0, s14, s0
	s_addc_u32 s1, s15, s1
	s_cmp_eq_u64 s[14:15], 0
	s_cselect_b32 s1, s3, s1
	s_cselect_b32 s0, s2, s0
	s_load_dwordx2 s[4:5], s[0:1], 0x0
	s_load_dword s11, s[6:7], 0x0
	v_mov_b32_e32 v3, s35
	v_cmp_gt_u64_e64 s[0:1], s[20:21], v[14:15]
	v_cmp_eq_u32_e64 s[2:3], 31, v14
	s_waitcnt lgkmcnt(0)
	s_sub_u32 s14, s4, s10
	s_subb_u32 s15, s5, 0
	v_pk_mov_b32 v[0:1], s[4:5], s[4:5] op_sel:[0,1]
	s_cmp_lg_u32 s11, 0
	v_cmp_eq_f64_e64 s[4:5], 0, v[10:11]
	s_cselect_b64 s[24:25], -1, 0
	s_and_b64 s[26:27], vcc, s[4:5]
	s_mul_i32 s4, s8, s21
	s_mul_hi_u32 s5, s8, s20
	s_add_i32 s4, s5, s4
	s_mul_i32 s5, s9, s20
	s_add_i32 s5, s4, s5
	s_mul_i32 s4, s8, s20
	s_lshl_b64 s[4:5], s[4:5], 4
	v_add_co_u32_e32 v2, vcc, s34, v2
	s_add_u32 s11, s28, s4
	v_addc_co_u32_e32 v3, vcc, 0, v3, vcc
	s_addc_u32 s33, s29, s5
	v_add_co_u32_e32 v16, vcc, 8, v2
	s_mul_i32 s4, s21, s22
	s_mul_i32 s5, s20, s23
	v_mov_b32_e32 v2, s22
	v_addc_co_u32_e32 v17, vcc, 0, v3, vcc
	s_add_i32 s6, s5, s4
	v_mad_u64_u32 v[2:3], s[4:5], s20, v2, v[12:13]
	v_mad_u64_u32 v[18:19], s[4:5], s20, v2, 0
	v_add_u32_e32 v3, s6, v3
	s_mul_i32 s4, s20, s21
	s_mul_hi_u32 s5, s20, s20
	v_cmp_lt_i64_e32 vcc, s[30:31], v[0:1]
	v_mul_lo_u32 v3, s20, v3
	v_mul_lo_u32 v20, s21, v2
	s_add_i32 s5, s5, s4
	v_cndmask_b32_e64 v0, 0, 1, vcc
	s_lshl_b64 s[8:9], s[20:21], 4
	v_add3_u32 v19, v19, v3, v20
	s_lshl_b64 s[28:29], s[20:21], 5
	s_add_i32 s38, s5, s4
	s_mul_i32 s39, s20, s20
	v_cmp_ne_u32_e64 s[4:5], 1, v0
	s_branch .LBB107_12
.LBB107_11:                             ;   in Loop: Header=BB107_12 Depth=1
	s_or_b64 exec, exec, s[6:7]
	v_add_co_u32_e32 v12, vcc, 32, v12
	v_addc_co_u32_e32 v13, vcc, 0, v13, vcc
	v_cmp_le_i64_e32 vcc, s[20:21], v[12:13]
	v_mov_b32_e32 v0, s29
	s_or_b64 s[12:13], vcc, s[12:13]
	v_add_co_u32_e32 v18, vcc, s28, v18
	v_addc_co_u32_e32 v19, vcc, v19, v0, vcc
	s_andn2_b64 exec, exec, s[12:13]
	s_cbranch_execz .LBB107_28
.LBB107_12:                             ; =>This Loop Header: Depth=1
                                        ;     Child Loop BB107_16 Depth 2
                                        ;       Child Loop BB107_19 Depth 3
	v_pk_mov_b32 v[0:1], 0, 0
	s_and_b64 vcc, exec, s[4:5]
	v_pk_mov_b32 v[2:3], v[0:1], v[0:1] op_sel:[0,1]
	s_cbranch_vccnz .LBB107_23
; %bb.13:                               ;   in Loop: Header=BB107_12 Depth=1
	v_pk_mov_b32 v[0:1], 0, 0
	v_pk_mov_b32 v[20:21], v[18:19], v[18:19] op_sel:[0,1]
	s_mov_b64 s[30:31], s[22:23]
	v_pk_mov_b32 v[2:3], v[0:1], v[0:1] op_sel:[0,1]
	s_branch .LBB107_16
.LBB107_14:                             ;   in Loop: Header=BB107_16 Depth=2
	s_or_b64 exec, exec, s[36:37]
.LBB107_15:                             ;   in Loop: Header=BB107_16 Depth=2
	s_or_b64 exec, exec, s[34:35]
	s_add_u32 s30, s30, 1
	v_mov_b32_e32 v22, s38
	v_add_co_u32_e32 v20, vcc, s39, v20
	s_addc_u32 s31, s31, 0
	v_addc_co_u32_e32 v21, vcc, v21, v22, vcc
	v_pk_mov_b32 v[22:23], s[14:15], s[14:15] op_sel:[0,1]
	v_cmp_ge_i64_e32 vcc, s[30:31], v[22:23]
	s_cbranch_vccnz .LBB107_23
.LBB107_16:                             ;   Parent Loop BB107_12 Depth=1
                                        ; =>  This Loop Header: Depth=2
                                        ;       Child Loop BB107_19 Depth 3
	s_and_saveexec_b64 s[34:35], s[0:1]
	s_cbranch_execz .LBB107_15
; %bb.17:                               ;   in Loop: Header=BB107_16 Depth=2
	s_lshl_b64 s[6:7], s[30:31], 3
	s_add_u32 s6, s16, s6
	s_addc_u32 s7, s17, s7
	s_load_dwordx2 s[6:7], s[6:7], 0x0
	s_mul_i32 s36, s30, s21
	s_mul_hi_u32 s37, s30, s20
	s_mul_i32 s40, s31, s20
	s_mul_i32 s41, s30, s20
	s_waitcnt lgkmcnt(0)
	s_sub_u32 s6, s6, s10
	s_subb_u32 s7, s7, 0
	s_add_i32 s36, s37, s36
	s_add_i32 s40, s36, s40
	s_mul_i32 s36, s9, s6
	s_mul_i32 s7, s8, s7
	v_mov_b32_e32 v22, s6
	s_add_i32 s36, s7, s36
	v_mad_u64_u32 v[22:23], s[6:7], s8, v22, v[16:17]
	v_add_u32_e32 v23, s36, v23
	s_mov_b64 s[36:37], 0
	v_pk_mov_b32 v[24:25], v[14:15], v[14:15] op_sel:[0,1]
	s_branch .LBB107_19
.LBB107_18:                             ;   in Loop: Header=BB107_19 Depth=3
	v_lshlrev_b64 v[26:27], 3, v[26:27]
	v_mov_b32_e32 v28, s19
	v_add_co_u32_e32 v30, vcc, s18, v26
	v_addc_co_u32_e32 v31, vcc, v28, v27, vcc
	global_load_dwordx2 v[32:33], v[30:31], off
	global_load_dwordx4 v[26:29], v[22:23], off offset:-8
	v_add_co_u32_e32 v24, vcc, 32, v24
	v_addc_co_u32_e32 v25, vcc, 0, v25, vcc
	v_add_co_u32_e32 v22, vcc, 0x200, v22
	v_cmp_le_i64_e64 s[6:7], s[20:21], v[24:25]
	s_or_b64 s[36:37], s[6:7], s[36:37]
	v_addc_co_u32_e32 v23, vcc, 0, v23, vcc
	s_waitcnt vmcnt(1)
	v_cvt_f64_f32_e32 v[30:31], v32
	v_cvt_f64_f32_e32 v[32:33], v33
	s_waitcnt vmcnt(0)
	v_fmac_f64_e32 v[2:3], v[30:31], v[26:27]
	v_fmac_f64_e32 v[0:1], v[32:33], v[26:27]
	v_fma_f64 v[2:3], -v[32:33], v[28:29], v[2:3]
	v_fmac_f64_e32 v[0:1], v[30:31], v[28:29]
	s_andn2_b64 exec, exec, s[36:37]
	s_cbranch_execz .LBB107_14
.LBB107_19:                             ;   Parent Loop BB107_12 Depth=1
                                        ;     Parent Loop BB107_16 Depth=2
                                        ; =>    This Inner Loop Header: Depth=3
	s_and_b64 vcc, exec, s[24:25]
	s_cbranch_vccz .LBB107_21
; %bb.20:                               ;   in Loop: Header=BB107_19 Depth=3
	v_mov_b32_e32 v26, s40
	v_add_co_u32_e32 v27, vcc, s41, v24
	v_addc_co_u32_e32 v26, vcc, v25, v26, vcc
	v_mul_lo_u32 v28, v27, s21
	v_mul_lo_u32 v29, v26, s20
	v_mad_u64_u32 v[26:27], s[6:7], v27, s20, v[12:13]
	v_add3_u32 v27, v29, v27, v28
	s_cbranch_execnz .LBB107_18
	s_branch .LBB107_22
.LBB107_21:                             ;   in Loop: Header=BB107_19 Depth=3
                                        ; implicit-def: $vgpr26_vgpr27
.LBB107_22:                             ;   in Loop: Header=BB107_19 Depth=3
	v_add_co_u32_e32 v26, vcc, v20, v24
	v_addc_co_u32_e32 v27, vcc, v21, v25, vcc
	s_branch .LBB107_18
.LBB107_23:                             ;   in Loop: Header=BB107_12 Depth=1
	s_nop 0
	v_mov_b32_dpp v20, v2 row_shr:1 row_mask:0xf bank_mask:0xf
	v_mov_b32_dpp v21, v3 row_shr:1 row_mask:0xf bank_mask:0xf
	v_mov_b32_dpp v22, v0 row_shr:1 row_mask:0xf bank_mask:0xf
	v_mov_b32_dpp v23, v1 row_shr:1 row_mask:0xf bank_mask:0xf
	v_add_f64 v[2:3], v[2:3], v[20:21]
	v_add_f64 v[0:1], v[0:1], v[22:23]
	s_nop 0
	v_mov_b32_dpp v20, v2 row_shr:2 row_mask:0xf bank_mask:0xf
	v_mov_b32_dpp v21, v3 row_shr:2 row_mask:0xf bank_mask:0xf
	v_mov_b32_dpp v22, v0 row_shr:2 row_mask:0xf bank_mask:0xf
	v_mov_b32_dpp v23, v1 row_shr:2 row_mask:0xf bank_mask:0xf
	v_add_f64 v[2:3], v[2:3], v[20:21]
	v_add_f64 v[0:1], v[0:1], v[22:23]
	;; [unrolled: 7-line block ×4, first 2 shown]
	s_nop 0
	v_mov_b32_dpp v20, v2 row_bcast:15 row_mask:0xa bank_mask:0xf
	v_mov_b32_dpp v21, v3 row_bcast:15 row_mask:0xa bank_mask:0xf
	;; [unrolled: 1-line block ×4, first 2 shown]
	s_and_saveexec_b64 s[6:7], s[2:3]
	s_cbranch_execz .LBB107_11
; %bb.24:                               ;   in Loop: Header=BB107_12 Depth=1
	v_add_f64 v[24:25], v[2:3], v[20:21]
	v_add_f64 v[2:3], v[0:1], v[22:23]
	v_mul_f64 v[0:1], v[2:3], -v[6:7]
	v_mul_f64 v[2:3], v[4:5], v[2:3]
	v_lshlrev_b64 v[20:21], 4, v[12:13]
	v_fmac_f64_e32 v[0:1], v[4:5], v[24:25]
	v_fmac_f64_e32 v[2:3], v[6:7], v[24:25]
	s_and_saveexec_b64 s[30:31], s[26:27]
	s_xor_b64 s[30:31], exec, s[30:31]
	s_cbranch_execz .LBB107_26
; %bb.25:                               ;   in Loop: Header=BB107_12 Depth=1
	v_mov_b32_e32 v22, s33
	v_add_co_u32_e32 v20, vcc, s11, v20
	v_addc_co_u32_e32 v21, vcc, v22, v21, vcc
	global_store_dwordx4 v[20:21], v[0:3], off
                                        ; implicit-def: $vgpr20_vgpr21
                                        ; implicit-def: $vgpr0_vgpr1
.LBB107_26:                             ;   in Loop: Header=BB107_12 Depth=1
	s_andn2_saveexec_b64 s[30:31], s[30:31]
	s_cbranch_execz .LBB107_11
; %bb.27:                               ;   in Loop: Header=BB107_12 Depth=1
	v_mov_b32_e32 v22, s33
	v_add_co_u32_e32 v24, vcc, s11, v20
	v_addc_co_u32_e32 v25, vcc, v22, v21, vcc
	global_load_dwordx4 v[20:23], v[24:25], off
	s_waitcnt vmcnt(0)
	v_fmac_f64_e32 v[0:1], v[8:9], v[20:21]
	v_fmac_f64_e32 v[2:3], v[10:11], v[20:21]
	v_fma_f64 v[0:1], -v[10:11], v[22:23], v[0:1]
	v_fmac_f64_e32 v[2:3], v[8:9], v[22:23]
	global_store_dwordx4 v[24:25], v[0:3], off
	s_branch .LBB107_11
.LBB107_28:
	s_endpgm
	.section	.rodata,"a",@progbits
	.p2align	6, 0x0
	.amdhsa_kernel _ZN9rocsparseL22bsrxmvn_general_kernelILj1024ELj32E21rocsparse_complex_numIdEllS1_IfES2_S2_EEv20rocsparse_direction_NS_24const_host_device_scalarIT1_EET3_PKS8_PKT2_SD_SA_PKT4_S8_PKT5_S7_PT6_21rocsparse_index_base_b
		.amdhsa_group_segment_fixed_size 16384
		.amdhsa_private_segment_fixed_size 0
		.amdhsa_kernarg_size 120
		.amdhsa_user_sgpr_count 8
		.amdhsa_user_sgpr_private_segment_buffer 1
		.amdhsa_user_sgpr_dispatch_ptr 1
		.amdhsa_user_sgpr_queue_ptr 0
		.amdhsa_user_sgpr_kernarg_segment_ptr 1
		.amdhsa_user_sgpr_dispatch_id 0
		.amdhsa_user_sgpr_flat_scratch_init 0
		.amdhsa_user_sgpr_kernarg_preload_length 0
		.amdhsa_user_sgpr_kernarg_preload_offset 0
		.amdhsa_user_sgpr_private_segment_size 0
		.amdhsa_uses_dynamic_stack 0
		.amdhsa_system_sgpr_private_segment_wavefront_offset 0
		.amdhsa_system_sgpr_workgroup_id_x 1
		.amdhsa_system_sgpr_workgroup_id_y 0
		.amdhsa_system_sgpr_workgroup_id_z 0
		.amdhsa_system_sgpr_workgroup_info 0
		.amdhsa_system_vgpr_workitem_id 2
		.amdhsa_next_free_vgpr 34
		.amdhsa_next_free_sgpr 42
		.amdhsa_accum_offset 36
		.amdhsa_reserve_vcc 1
		.amdhsa_reserve_flat_scratch 0
		.amdhsa_float_round_mode_32 0
		.amdhsa_float_round_mode_16_64 0
		.amdhsa_float_denorm_mode_32 3
		.amdhsa_float_denorm_mode_16_64 3
		.amdhsa_dx10_clamp 1
		.amdhsa_ieee_mode 1
		.amdhsa_fp16_overflow 0
		.amdhsa_tg_split 0
		.amdhsa_exception_fp_ieee_invalid_op 0
		.amdhsa_exception_fp_denorm_src 0
		.amdhsa_exception_fp_ieee_div_zero 0
		.amdhsa_exception_fp_ieee_overflow 0
		.amdhsa_exception_fp_ieee_underflow 0
		.amdhsa_exception_fp_ieee_inexact 0
		.amdhsa_exception_int_div_zero 0
	.end_amdhsa_kernel
	.section	.text._ZN9rocsparseL22bsrxmvn_general_kernelILj1024ELj32E21rocsparse_complex_numIdEllS1_IfES2_S2_EEv20rocsparse_direction_NS_24const_host_device_scalarIT1_EET3_PKS8_PKT2_SD_SA_PKT4_S8_PKT5_S7_PT6_21rocsparse_index_base_b,"axG",@progbits,_ZN9rocsparseL22bsrxmvn_general_kernelILj1024ELj32E21rocsparse_complex_numIdEllS1_IfES2_S2_EEv20rocsparse_direction_NS_24const_host_device_scalarIT1_EET3_PKS8_PKT2_SD_SA_PKT4_S8_PKT5_S7_PT6_21rocsparse_index_base_b,comdat
.Lfunc_end107:
	.size	_ZN9rocsparseL22bsrxmvn_general_kernelILj1024ELj32E21rocsparse_complex_numIdEllS1_IfES2_S2_EEv20rocsparse_direction_NS_24const_host_device_scalarIT1_EET3_PKS8_PKT2_SD_SA_PKT4_S8_PKT5_S7_PT6_21rocsparse_index_base_b, .Lfunc_end107-_ZN9rocsparseL22bsrxmvn_general_kernelILj1024ELj32E21rocsparse_complex_numIdEllS1_IfES2_S2_EEv20rocsparse_direction_NS_24const_host_device_scalarIT1_EET3_PKS8_PKT2_SD_SA_PKT4_S8_PKT5_S7_PT6_21rocsparse_index_base_b
                                        ; -- End function
	.section	.AMDGPU.csdata,"",@progbits
; Kernel info:
; codeLenInByte = 1592
; NumSgprs: 46
; NumVgprs: 34
; NumAgprs: 0
; TotalNumVgprs: 34
; ScratchSize: 0
; MemoryBound: 0
; FloatMode: 240
; IeeeMode: 1
; LDSByteSize: 16384 bytes/workgroup (compile time only)
; SGPRBlocks: 5
; VGPRBlocks: 4
; NumSGPRsForWavesPerEU: 46
; NumVGPRsForWavesPerEU: 34
; AccumOffset: 36
; Occupancy: 8
; WaveLimiterHint : 1
; COMPUTE_PGM_RSRC2:SCRATCH_EN: 0
; COMPUTE_PGM_RSRC2:USER_SGPR: 8
; COMPUTE_PGM_RSRC2:TRAP_HANDLER: 0
; COMPUTE_PGM_RSRC2:TGID_X_EN: 1
; COMPUTE_PGM_RSRC2:TGID_Y_EN: 0
; COMPUTE_PGM_RSRC2:TGID_Z_EN: 0
; COMPUTE_PGM_RSRC2:TIDIG_COMP_CNT: 2
; COMPUTE_PGM_RSRC3_GFX90A:ACCUM_OFFSET: 8
; COMPUTE_PGM_RSRC3_GFX90A:TG_SPLIT: 0
	.text
	.p2alignl 6, 3212836864
	.fill 256, 4, 3212836864
	.type	__hip_cuid_a6ef7d5a6a17e9f2,@object ; @__hip_cuid_a6ef7d5a6a17e9f2
	.section	.bss,"aw",@nobits
	.globl	__hip_cuid_a6ef7d5a6a17e9f2
__hip_cuid_a6ef7d5a6a17e9f2:
	.byte	0                               ; 0x0
	.size	__hip_cuid_a6ef7d5a6a17e9f2, 1

	.ident	"AMD clang version 19.0.0git (https://github.com/RadeonOpenCompute/llvm-project roc-6.4.0 25133 c7fe45cf4b819c5991fe208aaa96edf142730f1d)"
	.section	".note.GNU-stack","",@progbits
	.addrsig
	.addrsig_sym __hip_cuid_a6ef7d5a6a17e9f2
	.amdgpu_metadata
---
amdhsa.kernels:
  - .agpr_count:     0
    .args:
      - .offset:         0
        .size:           4
        .value_kind:     by_value
      - .offset:         8
        .size:           8
        .value_kind:     by_value
      - .offset:         16
        .size:           4
        .value_kind:     by_value
      - .actual_access:  read_only
        .address_space:  global
        .offset:         24
        .size:           8
        .value_kind:     global_buffer
      - .actual_access:  read_only
        .address_space:  global
        .offset:         32
        .size:           8
        .value_kind:     global_buffer
      - .actual_access:  read_only
        .address_space:  global
        .offset:         40
        .size:           8
        .value_kind:     global_buffer
      - .actual_access:  read_only
        .address_space:  global
        .offset:         48
        .size:           8
        .value_kind:     global_buffer
      - .actual_access:  read_only
        .address_space:  global
        .offset:         56
        .size:           8
        .value_kind:     global_buffer
      - .offset:         64
        .size:           4
        .value_kind:     by_value
      - .actual_access:  read_only
        .address_space:  global
        .offset:         72
        .size:           8
        .value_kind:     global_buffer
      - .offset:         80
        .size:           8
        .value_kind:     by_value
      - .address_space:  global
        .offset:         88
        .size:           8
        .value_kind:     global_buffer
      - .offset:         96
        .size:           4
        .value_kind:     by_value
      - .offset:         100
        .size:           1
        .value_kind:     by_value
    .group_segment_fixed_size: 0
    .kernarg_segment_align: 8
    .kernarg_segment_size: 104
    .language:       OpenCL C
    .language_version:
      - 2
      - 0
    .max_flat_workgroup_size: 64
    .name:           _ZN9rocsparseL22bsrxmvn_general_kernelILj64ELj8EfiifffEEv20rocsparse_direction_NS_24const_host_device_scalarIT1_EET3_PKS5_PKT2_SA_S7_PKT4_S5_PKT5_S4_PT6_21rocsparse_index_base_b
    .private_segment_fixed_size: 0
    .sgpr_count:     45
    .sgpr_spill_count: 0
    .symbol:         _ZN9rocsparseL22bsrxmvn_general_kernelILj64ELj8EfiifffEEv20rocsparse_direction_NS_24const_host_device_scalarIT1_EET3_PKS5_PKT2_SA_S7_PKT4_S5_PKT5_S4_PT6_21rocsparse_index_base_b.kd
    .uniform_work_group_size: 1
    .uses_dynamic_stack: false
    .vgpr_count:     18
    .vgpr_spill_count: 0
    .wavefront_size: 64
  - .agpr_count:     0
    .args:
      - .offset:         0
        .size:           4
        .value_kind:     by_value
      - .offset:         8
        .size:           8
        .value_kind:     by_value
      - .offset:         16
        .size:           4
        .value_kind:     by_value
      - .actual_access:  read_only
        .address_space:  global
        .offset:         24
        .size:           8
        .value_kind:     global_buffer
      - .actual_access:  read_only
        .address_space:  global
        .offset:         32
        .size:           8
        .value_kind:     global_buffer
      - .actual_access:  read_only
        .address_space:  global
        .offset:         40
        .size:           8
        .value_kind:     global_buffer
      - .actual_access:  read_only
        .address_space:  global
        .offset:         48
        .size:           8
        .value_kind:     global_buffer
      - .actual_access:  read_only
        .address_space:  global
        .offset:         56
        .size:           8
        .value_kind:     global_buffer
      - .offset:         64
        .size:           4
        .value_kind:     by_value
      - .actual_access:  read_only
        .address_space:  global
        .offset:         72
        .size:           8
        .value_kind:     global_buffer
      - .offset:         80
        .size:           8
        .value_kind:     by_value
      - .address_space:  global
        .offset:         88
        .size:           8
        .value_kind:     global_buffer
      - .offset:         96
        .size:           4
        .value_kind:     by_value
      - .offset:         100
        .size:           1
        .value_kind:     by_value
    .group_segment_fixed_size: 0
    .kernarg_segment_align: 8
    .kernarg_segment_size: 104
    .language:       OpenCL C
    .language_version:
      - 2
      - 0
    .max_flat_workgroup_size: 256
    .name:           _ZN9rocsparseL22bsrxmvn_general_kernelILj256ELj16EfiifffEEv20rocsparse_direction_NS_24const_host_device_scalarIT1_EET3_PKS5_PKT2_SA_S7_PKT4_S5_PKT5_S4_PT6_21rocsparse_index_base_b
    .private_segment_fixed_size: 0
    .sgpr_count:     45
    .sgpr_spill_count: 0
    .symbol:         _ZN9rocsparseL22bsrxmvn_general_kernelILj256ELj16EfiifffEEv20rocsparse_direction_NS_24const_host_device_scalarIT1_EET3_PKS5_PKT2_SA_S7_PKT4_S5_PKT5_S4_PT6_21rocsparse_index_base_b.kd
    .uniform_work_group_size: 1
    .uses_dynamic_stack: false
    .vgpr_count:     18
    .vgpr_spill_count: 0
    .wavefront_size: 64
  - .agpr_count:     0
    .args:
      - .offset:         0
        .size:           4
        .value_kind:     by_value
      - .offset:         8
        .size:           8
        .value_kind:     by_value
      - .offset:         16
        .size:           4
        .value_kind:     by_value
      - .actual_access:  read_only
        .address_space:  global
        .offset:         24
        .size:           8
        .value_kind:     global_buffer
      - .actual_access:  read_only
        .address_space:  global
        .offset:         32
        .size:           8
        .value_kind:     global_buffer
      - .actual_access:  read_only
        .address_space:  global
        .offset:         40
        .size:           8
        .value_kind:     global_buffer
      - .actual_access:  read_only
        .address_space:  global
        .offset:         48
        .size:           8
        .value_kind:     global_buffer
      - .actual_access:  read_only
        .address_space:  global
        .offset:         56
        .size:           8
        .value_kind:     global_buffer
      - .offset:         64
        .size:           4
        .value_kind:     by_value
      - .actual_access:  read_only
        .address_space:  global
        .offset:         72
        .size:           8
        .value_kind:     global_buffer
      - .offset:         80
        .size:           8
        .value_kind:     by_value
      - .address_space:  global
        .offset:         88
        .size:           8
        .value_kind:     global_buffer
      - .offset:         96
        .size:           4
        .value_kind:     by_value
      - .offset:         100
        .size:           1
        .value_kind:     by_value
    .group_segment_fixed_size: 0
    .kernarg_segment_align: 8
    .kernarg_segment_size: 104
    .language:       OpenCL C
    .language_version:
      - 2
      - 0
    .max_flat_workgroup_size: 1024
    .name:           _ZN9rocsparseL22bsrxmvn_general_kernelILj1024ELj32EfiifffEEv20rocsparse_direction_NS_24const_host_device_scalarIT1_EET3_PKS5_PKT2_SA_S7_PKT4_S5_PKT5_S4_PT6_21rocsparse_index_base_b
    .private_segment_fixed_size: 0
    .sgpr_count:     45
    .sgpr_spill_count: 0
    .symbol:         _ZN9rocsparseL22bsrxmvn_general_kernelILj1024ELj32EfiifffEEv20rocsparse_direction_NS_24const_host_device_scalarIT1_EET3_PKS5_PKT2_SA_S7_PKT4_S5_PKT5_S4_PT6_21rocsparse_index_base_b.kd
    .uniform_work_group_size: 1
    .uses_dynamic_stack: false
    .vgpr_count:     18
    .vgpr_spill_count: 0
    .wavefront_size: 64
  - .agpr_count:     0
    .args:
      - .offset:         0
        .size:           4
        .value_kind:     by_value
      - .offset:         8
        .size:           8
        .value_kind:     by_value
      - .offset:         16
        .size:           4
        .value_kind:     by_value
      - .actual_access:  read_only
        .address_space:  global
        .offset:         24
        .size:           8
        .value_kind:     global_buffer
      - .actual_access:  read_only
        .address_space:  global
        .offset:         32
        .size:           8
        .value_kind:     global_buffer
      - .actual_access:  read_only
        .address_space:  global
        .offset:         40
        .size:           8
        .value_kind:     global_buffer
      - .actual_access:  read_only
        .address_space:  global
        .offset:         48
        .size:           8
        .value_kind:     global_buffer
      - .actual_access:  read_only
        .address_space:  global
        .offset:         56
        .size:           8
        .value_kind:     global_buffer
      - .offset:         64
        .size:           4
        .value_kind:     by_value
      - .actual_access:  read_only
        .address_space:  global
        .offset:         72
        .size:           8
        .value_kind:     global_buffer
      - .offset:         80
        .size:           8
        .value_kind:     by_value
      - .address_space:  global
        .offset:         88
        .size:           8
        .value_kind:     global_buffer
      - .offset:         96
        .size:           4
        .value_kind:     by_value
      - .offset:         100
        .size:           1
        .value_kind:     by_value
    .group_segment_fixed_size: 0
    .kernarg_segment_align: 8
    .kernarg_segment_size: 104
    .language:       OpenCL C
    .language_version:
      - 2
      - 0
    .max_flat_workgroup_size: 64
    .name:           _ZN9rocsparseL22bsrxmvn_general_kernelILj64ELj8EdiidddEEv20rocsparse_direction_NS_24const_host_device_scalarIT1_EET3_PKS5_PKT2_SA_S7_PKT4_S5_PKT5_S4_PT6_21rocsparse_index_base_b
    .private_segment_fixed_size: 0
    .sgpr_count:     43
    .sgpr_spill_count: 0
    .symbol:         _ZN9rocsparseL22bsrxmvn_general_kernelILj64ELj8EdiidddEEv20rocsparse_direction_NS_24const_host_device_scalarIT1_EET3_PKS5_PKT2_SA_S7_PKT4_S5_PKT5_S4_PT6_21rocsparse_index_base_b.kd
    .uniform_work_group_size: 1
    .uses_dynamic_stack: false
    .vgpr_count:     24
    .vgpr_spill_count: 0
    .wavefront_size: 64
  - .agpr_count:     0
    .args:
      - .offset:         0
        .size:           4
        .value_kind:     by_value
      - .offset:         8
        .size:           8
        .value_kind:     by_value
      - .offset:         16
        .size:           4
        .value_kind:     by_value
      - .actual_access:  read_only
        .address_space:  global
        .offset:         24
        .size:           8
        .value_kind:     global_buffer
      - .actual_access:  read_only
        .address_space:  global
        .offset:         32
        .size:           8
        .value_kind:     global_buffer
      - .actual_access:  read_only
        .address_space:  global
        .offset:         40
        .size:           8
        .value_kind:     global_buffer
      - .actual_access:  read_only
        .address_space:  global
        .offset:         48
        .size:           8
        .value_kind:     global_buffer
      - .actual_access:  read_only
        .address_space:  global
        .offset:         56
        .size:           8
        .value_kind:     global_buffer
      - .offset:         64
        .size:           4
        .value_kind:     by_value
      - .actual_access:  read_only
        .address_space:  global
        .offset:         72
        .size:           8
        .value_kind:     global_buffer
      - .offset:         80
        .size:           8
        .value_kind:     by_value
      - .address_space:  global
        .offset:         88
        .size:           8
        .value_kind:     global_buffer
      - .offset:         96
        .size:           4
        .value_kind:     by_value
      - .offset:         100
        .size:           1
        .value_kind:     by_value
    .group_segment_fixed_size: 0
    .kernarg_segment_align: 8
    .kernarg_segment_size: 104
    .language:       OpenCL C
    .language_version:
      - 2
      - 0
    .max_flat_workgroup_size: 256
    .name:           _ZN9rocsparseL22bsrxmvn_general_kernelILj256ELj16EdiidddEEv20rocsparse_direction_NS_24const_host_device_scalarIT1_EET3_PKS5_PKT2_SA_S7_PKT4_S5_PKT5_S4_PT6_21rocsparse_index_base_b
    .private_segment_fixed_size: 0
    .sgpr_count:     43
    .sgpr_spill_count: 0
    .symbol:         _ZN9rocsparseL22bsrxmvn_general_kernelILj256ELj16EdiidddEEv20rocsparse_direction_NS_24const_host_device_scalarIT1_EET3_PKS5_PKT2_SA_S7_PKT4_S5_PKT5_S4_PT6_21rocsparse_index_base_b.kd
    .uniform_work_group_size: 1
    .uses_dynamic_stack: false
    .vgpr_count:     24
    .vgpr_spill_count: 0
    .wavefront_size: 64
  - .agpr_count:     0
    .args:
      - .offset:         0
        .size:           4
        .value_kind:     by_value
      - .offset:         8
        .size:           8
        .value_kind:     by_value
      - .offset:         16
        .size:           4
        .value_kind:     by_value
      - .actual_access:  read_only
        .address_space:  global
        .offset:         24
        .size:           8
        .value_kind:     global_buffer
      - .actual_access:  read_only
        .address_space:  global
        .offset:         32
        .size:           8
        .value_kind:     global_buffer
      - .actual_access:  read_only
        .address_space:  global
        .offset:         40
        .size:           8
        .value_kind:     global_buffer
      - .actual_access:  read_only
        .address_space:  global
        .offset:         48
        .size:           8
        .value_kind:     global_buffer
      - .actual_access:  read_only
        .address_space:  global
        .offset:         56
        .size:           8
        .value_kind:     global_buffer
      - .offset:         64
        .size:           4
        .value_kind:     by_value
      - .actual_access:  read_only
        .address_space:  global
        .offset:         72
        .size:           8
        .value_kind:     global_buffer
      - .offset:         80
        .size:           8
        .value_kind:     by_value
      - .address_space:  global
        .offset:         88
        .size:           8
        .value_kind:     global_buffer
      - .offset:         96
        .size:           4
        .value_kind:     by_value
      - .offset:         100
        .size:           1
        .value_kind:     by_value
    .group_segment_fixed_size: 0
    .kernarg_segment_align: 8
    .kernarg_segment_size: 104
    .language:       OpenCL C
    .language_version:
      - 2
      - 0
    .max_flat_workgroup_size: 1024
    .name:           _ZN9rocsparseL22bsrxmvn_general_kernelILj1024ELj32EdiidddEEv20rocsparse_direction_NS_24const_host_device_scalarIT1_EET3_PKS5_PKT2_SA_S7_PKT4_S5_PKT5_S4_PT6_21rocsparse_index_base_b
    .private_segment_fixed_size: 0
    .sgpr_count:     43
    .sgpr_spill_count: 0
    .symbol:         _ZN9rocsparseL22bsrxmvn_general_kernelILj1024ELj32EdiidddEEv20rocsparse_direction_NS_24const_host_device_scalarIT1_EET3_PKS5_PKT2_SA_S7_PKT4_S5_PKT5_S4_PT6_21rocsparse_index_base_b.kd
    .uniform_work_group_size: 1
    .uses_dynamic_stack: false
    .vgpr_count:     24
    .vgpr_spill_count: 0
    .wavefront_size: 64
  - .agpr_count:     0
    .args:
      - .offset:         0
        .size:           4
        .value_kind:     by_value
      - .offset:         8
        .size:           8
        .value_kind:     by_value
      - .offset:         16
        .size:           4
        .value_kind:     by_value
      - .actual_access:  read_only
        .address_space:  global
        .offset:         24
        .size:           8
        .value_kind:     global_buffer
      - .actual_access:  read_only
        .address_space:  global
        .offset:         32
        .size:           8
        .value_kind:     global_buffer
      - .actual_access:  read_only
        .address_space:  global
        .offset:         40
        .size:           8
        .value_kind:     global_buffer
      - .actual_access:  read_only
        .address_space:  global
        .offset:         48
        .size:           8
        .value_kind:     global_buffer
      - .actual_access:  read_only
        .address_space:  global
        .offset:         56
        .size:           8
        .value_kind:     global_buffer
      - .offset:         64
        .size:           4
        .value_kind:     by_value
      - .actual_access:  read_only
        .address_space:  global
        .offset:         72
        .size:           8
        .value_kind:     global_buffer
      - .offset:         80
        .size:           8
        .value_kind:     by_value
      - .address_space:  global
        .offset:         88
        .size:           8
        .value_kind:     global_buffer
      - .offset:         96
        .size:           4
        .value_kind:     by_value
      - .offset:         100
        .size:           1
        .value_kind:     by_value
    .group_segment_fixed_size: 0
    .kernarg_segment_align: 8
    .kernarg_segment_size: 104
    .language:       OpenCL C
    .language_version:
      - 2
      - 0
    .max_flat_workgroup_size: 64
    .name:           _ZN9rocsparseL22bsrxmvn_general_kernelILj64ELj8E21rocsparse_complex_numIfEiiS2_S2_S2_EEv20rocsparse_direction_NS_24const_host_device_scalarIT1_EET3_PKS7_PKT2_SC_S9_PKT4_S7_PKT5_S6_PT6_21rocsparse_index_base_b
    .private_segment_fixed_size: 0
    .sgpr_count:     45
    .sgpr_spill_count: 0
    .symbol:         _ZN9rocsparseL22bsrxmvn_general_kernelILj64ELj8E21rocsparse_complex_numIfEiiS2_S2_S2_EEv20rocsparse_direction_NS_24const_host_device_scalarIT1_EET3_PKS7_PKT2_SC_S9_PKT4_S7_PKT5_S6_PT6_21rocsparse_index_base_b.kd
    .uniform_work_group_size: 1
    .uses_dynamic_stack: false
    .vgpr_count:     32
    .vgpr_spill_count: 0
    .wavefront_size: 64
  - .agpr_count:     0
    .args:
      - .offset:         0
        .size:           4
        .value_kind:     by_value
      - .offset:         8
        .size:           8
        .value_kind:     by_value
      - .offset:         16
        .size:           4
        .value_kind:     by_value
      - .actual_access:  read_only
        .address_space:  global
        .offset:         24
        .size:           8
        .value_kind:     global_buffer
      - .actual_access:  read_only
        .address_space:  global
        .offset:         32
        .size:           8
        .value_kind:     global_buffer
      - .actual_access:  read_only
        .address_space:  global
        .offset:         40
        .size:           8
        .value_kind:     global_buffer
      - .actual_access:  read_only
        .address_space:  global
        .offset:         48
        .size:           8
        .value_kind:     global_buffer
      - .actual_access:  read_only
        .address_space:  global
        .offset:         56
        .size:           8
        .value_kind:     global_buffer
      - .offset:         64
        .size:           4
        .value_kind:     by_value
      - .actual_access:  read_only
        .address_space:  global
        .offset:         72
        .size:           8
        .value_kind:     global_buffer
      - .offset:         80
        .size:           8
        .value_kind:     by_value
      - .address_space:  global
        .offset:         88
        .size:           8
        .value_kind:     global_buffer
      - .offset:         96
        .size:           4
        .value_kind:     by_value
      - .offset:         100
        .size:           1
        .value_kind:     by_value
    .group_segment_fixed_size: 0
    .kernarg_segment_align: 8
    .kernarg_segment_size: 104
    .language:       OpenCL C
    .language_version:
      - 2
      - 0
    .max_flat_workgroup_size: 256
    .name:           _ZN9rocsparseL22bsrxmvn_general_kernelILj256ELj16E21rocsparse_complex_numIfEiiS2_S2_S2_EEv20rocsparse_direction_NS_24const_host_device_scalarIT1_EET3_PKS7_PKT2_SC_S9_PKT4_S7_PKT5_S6_PT6_21rocsparse_index_base_b
    .private_segment_fixed_size: 0
    .sgpr_count:     45
    .sgpr_spill_count: 0
    .symbol:         _ZN9rocsparseL22bsrxmvn_general_kernelILj256ELj16E21rocsparse_complex_numIfEiiS2_S2_S2_EEv20rocsparse_direction_NS_24const_host_device_scalarIT1_EET3_PKS7_PKT2_SC_S9_PKT4_S7_PKT5_S6_PT6_21rocsparse_index_base_b.kd
    .uniform_work_group_size: 1
    .uses_dynamic_stack: false
    .vgpr_count:     32
    .vgpr_spill_count: 0
    .wavefront_size: 64
  - .agpr_count:     0
    .args:
      - .offset:         0
        .size:           4
        .value_kind:     by_value
      - .offset:         8
        .size:           8
        .value_kind:     by_value
      - .offset:         16
        .size:           4
        .value_kind:     by_value
      - .actual_access:  read_only
        .address_space:  global
        .offset:         24
        .size:           8
        .value_kind:     global_buffer
      - .actual_access:  read_only
        .address_space:  global
        .offset:         32
        .size:           8
        .value_kind:     global_buffer
      - .actual_access:  read_only
        .address_space:  global
        .offset:         40
        .size:           8
        .value_kind:     global_buffer
      - .actual_access:  read_only
        .address_space:  global
        .offset:         48
        .size:           8
        .value_kind:     global_buffer
      - .actual_access:  read_only
        .address_space:  global
        .offset:         56
        .size:           8
        .value_kind:     global_buffer
      - .offset:         64
        .size:           4
        .value_kind:     by_value
      - .actual_access:  read_only
        .address_space:  global
        .offset:         72
        .size:           8
        .value_kind:     global_buffer
      - .offset:         80
        .size:           8
        .value_kind:     by_value
      - .address_space:  global
        .offset:         88
        .size:           8
        .value_kind:     global_buffer
      - .offset:         96
        .size:           4
        .value_kind:     by_value
      - .offset:         100
        .size:           1
        .value_kind:     by_value
    .group_segment_fixed_size: 0
    .kernarg_segment_align: 8
    .kernarg_segment_size: 104
    .language:       OpenCL C
    .language_version:
      - 2
      - 0
    .max_flat_workgroup_size: 1024
    .name:           _ZN9rocsparseL22bsrxmvn_general_kernelILj1024ELj32E21rocsparse_complex_numIfEiiS2_S2_S2_EEv20rocsparse_direction_NS_24const_host_device_scalarIT1_EET3_PKS7_PKT2_SC_S9_PKT4_S7_PKT5_S6_PT6_21rocsparse_index_base_b
    .private_segment_fixed_size: 0
    .sgpr_count:     45
    .sgpr_spill_count: 0
    .symbol:         _ZN9rocsparseL22bsrxmvn_general_kernelILj1024ELj32E21rocsparse_complex_numIfEiiS2_S2_S2_EEv20rocsparse_direction_NS_24const_host_device_scalarIT1_EET3_PKS7_PKT2_SC_S9_PKT4_S7_PKT5_S6_PT6_21rocsparse_index_base_b.kd
    .uniform_work_group_size: 1
    .uses_dynamic_stack: false
    .vgpr_count:     32
    .vgpr_spill_count: 0
    .wavefront_size: 64
  - .agpr_count:     0
    .args:
      - .offset:         0
        .size:           4
        .value_kind:     by_value
      - .offset:         8
        .size:           16
        .value_kind:     by_value
      - .offset:         24
        .size:           4
        .value_kind:     by_value
      - .actual_access:  read_only
        .address_space:  global
        .offset:         32
        .size:           8
        .value_kind:     global_buffer
      - .actual_access:  read_only
        .address_space:  global
        .offset:         40
        .size:           8
        .value_kind:     global_buffer
      - .actual_access:  read_only
        .address_space:  global
        .offset:         48
        .size:           8
        .value_kind:     global_buffer
      - .actual_access:  read_only
        .address_space:  global
        .offset:         56
        .size:           8
        .value_kind:     global_buffer
      - .actual_access:  read_only
        .address_space:  global
        .offset:         64
        .size:           8
        .value_kind:     global_buffer
      - .offset:         72
        .size:           4
        .value_kind:     by_value
      - .actual_access:  read_only
        .address_space:  global
        .offset:         80
        .size:           8
        .value_kind:     global_buffer
      - .offset:         88
        .size:           16
        .value_kind:     by_value
      - .address_space:  global
        .offset:         104
        .size:           8
        .value_kind:     global_buffer
      - .offset:         112
        .size:           4
        .value_kind:     by_value
      - .offset:         116
        .size:           1
        .value_kind:     by_value
    .group_segment_fixed_size: 1024
    .kernarg_segment_align: 8
    .kernarg_segment_size: 120
    .language:       OpenCL C
    .language_version:
      - 2
      - 0
    .max_flat_workgroup_size: 64
    .name:           _ZN9rocsparseL22bsrxmvn_general_kernelILj64ELj8E21rocsparse_complex_numIdEiiS2_S2_S2_EEv20rocsparse_direction_NS_24const_host_device_scalarIT1_EET3_PKS7_PKT2_SC_S9_PKT4_S7_PKT5_S6_PT6_21rocsparse_index_base_b
    .private_segment_fixed_size: 0
    .sgpr_count:     43
    .sgpr_spill_count: 0
    .symbol:         _ZN9rocsparseL22bsrxmvn_general_kernelILj64ELj8E21rocsparse_complex_numIdEiiS2_S2_S2_EEv20rocsparse_direction_NS_24const_host_device_scalarIT1_EET3_PKS7_PKT2_SC_S9_PKT4_S7_PKT5_S6_PT6_21rocsparse_index_base_b.kd
    .uniform_work_group_size: 1
    .uses_dynamic_stack: false
    .vgpr_count:     36
    .vgpr_spill_count: 0
    .wavefront_size: 64
  - .agpr_count:     0
    .args:
      - .offset:         0
        .size:           4
        .value_kind:     by_value
      - .offset:         8
        .size:           16
        .value_kind:     by_value
      - .offset:         24
        .size:           4
        .value_kind:     by_value
      - .actual_access:  read_only
        .address_space:  global
        .offset:         32
        .size:           8
        .value_kind:     global_buffer
      - .actual_access:  read_only
        .address_space:  global
        .offset:         40
        .size:           8
        .value_kind:     global_buffer
      - .actual_access:  read_only
        .address_space:  global
        .offset:         48
        .size:           8
        .value_kind:     global_buffer
      - .actual_access:  read_only
        .address_space:  global
        .offset:         56
        .size:           8
        .value_kind:     global_buffer
      - .actual_access:  read_only
        .address_space:  global
        .offset:         64
        .size:           8
        .value_kind:     global_buffer
      - .offset:         72
        .size:           4
        .value_kind:     by_value
      - .actual_access:  read_only
        .address_space:  global
        .offset:         80
        .size:           8
        .value_kind:     global_buffer
      - .offset:         88
        .size:           16
        .value_kind:     by_value
      - .address_space:  global
        .offset:         104
        .size:           8
        .value_kind:     global_buffer
      - .offset:         112
        .size:           4
        .value_kind:     by_value
      - .offset:         116
        .size:           1
        .value_kind:     by_value
    .group_segment_fixed_size: 4096
    .kernarg_segment_align: 8
    .kernarg_segment_size: 120
    .language:       OpenCL C
    .language_version:
      - 2
      - 0
    .max_flat_workgroup_size: 256
    .name:           _ZN9rocsparseL22bsrxmvn_general_kernelILj256ELj16E21rocsparse_complex_numIdEiiS2_S2_S2_EEv20rocsparse_direction_NS_24const_host_device_scalarIT1_EET3_PKS7_PKT2_SC_S9_PKT4_S7_PKT5_S6_PT6_21rocsparse_index_base_b
    .private_segment_fixed_size: 0
    .sgpr_count:     43
    .sgpr_spill_count: 0
    .symbol:         _ZN9rocsparseL22bsrxmvn_general_kernelILj256ELj16E21rocsparse_complex_numIdEiiS2_S2_S2_EEv20rocsparse_direction_NS_24const_host_device_scalarIT1_EET3_PKS7_PKT2_SC_S9_PKT4_S7_PKT5_S6_PT6_21rocsparse_index_base_b.kd
    .uniform_work_group_size: 1
    .uses_dynamic_stack: false
    .vgpr_count:     36
    .vgpr_spill_count: 0
    .wavefront_size: 64
  - .agpr_count:     0
    .args:
      - .offset:         0
        .size:           4
        .value_kind:     by_value
      - .offset:         8
        .size:           16
        .value_kind:     by_value
      - .offset:         24
        .size:           4
        .value_kind:     by_value
      - .actual_access:  read_only
        .address_space:  global
        .offset:         32
        .size:           8
        .value_kind:     global_buffer
      - .actual_access:  read_only
        .address_space:  global
        .offset:         40
        .size:           8
        .value_kind:     global_buffer
      - .actual_access:  read_only
        .address_space:  global
        .offset:         48
        .size:           8
        .value_kind:     global_buffer
      - .actual_access:  read_only
        .address_space:  global
        .offset:         56
        .size:           8
        .value_kind:     global_buffer
      - .actual_access:  read_only
        .address_space:  global
        .offset:         64
        .size:           8
        .value_kind:     global_buffer
      - .offset:         72
        .size:           4
        .value_kind:     by_value
      - .actual_access:  read_only
        .address_space:  global
        .offset:         80
        .size:           8
        .value_kind:     global_buffer
      - .offset:         88
        .size:           16
        .value_kind:     by_value
      - .address_space:  global
        .offset:         104
        .size:           8
        .value_kind:     global_buffer
      - .offset:         112
        .size:           4
        .value_kind:     by_value
      - .offset:         116
        .size:           1
        .value_kind:     by_value
    .group_segment_fixed_size: 16384
    .kernarg_segment_align: 8
    .kernarg_segment_size: 120
    .language:       OpenCL C
    .language_version:
      - 2
      - 0
    .max_flat_workgroup_size: 1024
    .name:           _ZN9rocsparseL22bsrxmvn_general_kernelILj1024ELj32E21rocsparse_complex_numIdEiiS2_S2_S2_EEv20rocsparse_direction_NS_24const_host_device_scalarIT1_EET3_PKS7_PKT2_SC_S9_PKT4_S7_PKT5_S6_PT6_21rocsparse_index_base_b
    .private_segment_fixed_size: 0
    .sgpr_count:     43
    .sgpr_spill_count: 0
    .symbol:         _ZN9rocsparseL22bsrxmvn_general_kernelILj1024ELj32E21rocsparse_complex_numIdEiiS2_S2_S2_EEv20rocsparse_direction_NS_24const_host_device_scalarIT1_EET3_PKS7_PKT2_SC_S9_PKT4_S7_PKT5_S6_PT6_21rocsparse_index_base_b.kd
    .uniform_work_group_size: 1
    .uses_dynamic_stack: false
    .vgpr_count:     36
    .vgpr_spill_count: 0
    .wavefront_size: 64
  - .agpr_count:     0
    .args:
      - .offset:         0
        .size:           4
        .value_kind:     by_value
      - .offset:         8
        .size:           8
        .value_kind:     by_value
      - .offset:         16
        .size:           4
        .value_kind:     by_value
      - .actual_access:  read_only
        .address_space:  global
        .offset:         24
        .size:           8
        .value_kind:     global_buffer
      - .actual_access:  read_only
        .address_space:  global
        .offset:         32
        .size:           8
        .value_kind:     global_buffer
      - .actual_access:  read_only
        .address_space:  global
        .offset:         40
        .size:           8
        .value_kind:     global_buffer
      - .actual_access:  read_only
        .address_space:  global
        .offset:         48
        .size:           8
        .value_kind:     global_buffer
      - .actual_access:  read_only
        .address_space:  global
        .offset:         56
        .size:           8
        .value_kind:     global_buffer
      - .offset:         64
        .size:           4
        .value_kind:     by_value
      - .actual_access:  read_only
        .address_space:  global
        .offset:         72
        .size:           8
        .value_kind:     global_buffer
      - .offset:         80
        .size:           8
        .value_kind:     by_value
      - .address_space:  global
        .offset:         88
        .size:           8
        .value_kind:     global_buffer
      - .offset:         96
        .size:           4
        .value_kind:     by_value
      - .offset:         100
        .size:           1
        .value_kind:     by_value
    .group_segment_fixed_size: 0
    .kernarg_segment_align: 8
    .kernarg_segment_size: 104
    .language:       OpenCL C
    .language_version:
      - 2
      - 0
    .max_flat_workgroup_size: 64
    .name:           _ZN9rocsparseL22bsrxmvn_general_kernelILj64ELj8EflifffEEv20rocsparse_direction_NS_24const_host_device_scalarIT1_EET3_PKS5_PKT2_SA_S7_PKT4_S5_PKT5_S4_PT6_21rocsparse_index_base_b
    .private_segment_fixed_size: 0
    .sgpr_count:     48
    .sgpr_spill_count: 0
    .symbol:         _ZN9rocsparseL22bsrxmvn_general_kernelILj64ELj8EflifffEEv20rocsparse_direction_NS_24const_host_device_scalarIT1_EET3_PKS5_PKT2_SA_S7_PKT4_S5_PKT5_S4_PT6_21rocsparse_index_base_b.kd
    .uniform_work_group_size: 1
    .uses_dynamic_stack: false
    .vgpr_count:     18
    .vgpr_spill_count: 0
    .wavefront_size: 64
  - .agpr_count:     0
    .args:
      - .offset:         0
        .size:           4
        .value_kind:     by_value
      - .offset:         8
        .size:           8
        .value_kind:     by_value
      - .offset:         16
        .size:           4
        .value_kind:     by_value
      - .actual_access:  read_only
        .address_space:  global
        .offset:         24
        .size:           8
        .value_kind:     global_buffer
      - .actual_access:  read_only
        .address_space:  global
        .offset:         32
        .size:           8
        .value_kind:     global_buffer
      - .actual_access:  read_only
        .address_space:  global
        .offset:         40
        .size:           8
        .value_kind:     global_buffer
      - .actual_access:  read_only
        .address_space:  global
        .offset:         48
        .size:           8
        .value_kind:     global_buffer
      - .actual_access:  read_only
        .address_space:  global
        .offset:         56
        .size:           8
        .value_kind:     global_buffer
      - .offset:         64
        .size:           4
        .value_kind:     by_value
      - .actual_access:  read_only
        .address_space:  global
        .offset:         72
        .size:           8
        .value_kind:     global_buffer
      - .offset:         80
        .size:           8
        .value_kind:     by_value
      - .address_space:  global
        .offset:         88
        .size:           8
        .value_kind:     global_buffer
      - .offset:         96
        .size:           4
        .value_kind:     by_value
      - .offset:         100
        .size:           1
        .value_kind:     by_value
    .group_segment_fixed_size: 0
    .kernarg_segment_align: 8
    .kernarg_segment_size: 104
    .language:       OpenCL C
    .language_version:
      - 2
      - 0
    .max_flat_workgroup_size: 256
    .name:           _ZN9rocsparseL22bsrxmvn_general_kernelILj256ELj16EflifffEEv20rocsparse_direction_NS_24const_host_device_scalarIT1_EET3_PKS5_PKT2_SA_S7_PKT4_S5_PKT5_S4_PT6_21rocsparse_index_base_b
    .private_segment_fixed_size: 0
    .sgpr_count:     48
    .sgpr_spill_count: 0
    .symbol:         _ZN9rocsparseL22bsrxmvn_general_kernelILj256ELj16EflifffEEv20rocsparse_direction_NS_24const_host_device_scalarIT1_EET3_PKS5_PKT2_SA_S7_PKT4_S5_PKT5_S4_PT6_21rocsparse_index_base_b.kd
    .uniform_work_group_size: 1
    .uses_dynamic_stack: false
    .vgpr_count:     18
    .vgpr_spill_count: 0
    .wavefront_size: 64
  - .agpr_count:     0
    .args:
      - .offset:         0
        .size:           4
        .value_kind:     by_value
      - .offset:         8
        .size:           8
        .value_kind:     by_value
      - .offset:         16
        .size:           4
        .value_kind:     by_value
      - .actual_access:  read_only
        .address_space:  global
        .offset:         24
        .size:           8
        .value_kind:     global_buffer
      - .actual_access:  read_only
        .address_space:  global
        .offset:         32
        .size:           8
        .value_kind:     global_buffer
      - .actual_access:  read_only
        .address_space:  global
        .offset:         40
        .size:           8
        .value_kind:     global_buffer
      - .actual_access:  read_only
        .address_space:  global
        .offset:         48
        .size:           8
        .value_kind:     global_buffer
      - .actual_access:  read_only
        .address_space:  global
        .offset:         56
        .size:           8
        .value_kind:     global_buffer
      - .offset:         64
        .size:           4
        .value_kind:     by_value
      - .actual_access:  read_only
        .address_space:  global
        .offset:         72
        .size:           8
        .value_kind:     global_buffer
      - .offset:         80
        .size:           8
        .value_kind:     by_value
      - .address_space:  global
        .offset:         88
        .size:           8
        .value_kind:     global_buffer
      - .offset:         96
        .size:           4
        .value_kind:     by_value
      - .offset:         100
        .size:           1
        .value_kind:     by_value
    .group_segment_fixed_size: 0
    .kernarg_segment_align: 8
    .kernarg_segment_size: 104
    .language:       OpenCL C
    .language_version:
      - 2
      - 0
    .max_flat_workgroup_size: 1024
    .name:           _ZN9rocsparseL22bsrxmvn_general_kernelILj1024ELj32EflifffEEv20rocsparse_direction_NS_24const_host_device_scalarIT1_EET3_PKS5_PKT2_SA_S7_PKT4_S5_PKT5_S4_PT6_21rocsparse_index_base_b
    .private_segment_fixed_size: 0
    .sgpr_count:     48
    .sgpr_spill_count: 0
    .symbol:         _ZN9rocsparseL22bsrxmvn_general_kernelILj1024ELj32EflifffEEv20rocsparse_direction_NS_24const_host_device_scalarIT1_EET3_PKS5_PKT2_SA_S7_PKT4_S5_PKT5_S4_PT6_21rocsparse_index_base_b.kd
    .uniform_work_group_size: 1
    .uses_dynamic_stack: false
    .vgpr_count:     18
    .vgpr_spill_count: 0
    .wavefront_size: 64
  - .agpr_count:     0
    .args:
      - .offset:         0
        .size:           4
        .value_kind:     by_value
      - .offset:         8
        .size:           8
        .value_kind:     by_value
      - .offset:         16
        .size:           4
        .value_kind:     by_value
      - .actual_access:  read_only
        .address_space:  global
        .offset:         24
        .size:           8
        .value_kind:     global_buffer
      - .actual_access:  read_only
        .address_space:  global
        .offset:         32
        .size:           8
        .value_kind:     global_buffer
      - .actual_access:  read_only
        .address_space:  global
        .offset:         40
        .size:           8
        .value_kind:     global_buffer
      - .actual_access:  read_only
        .address_space:  global
        .offset:         48
        .size:           8
        .value_kind:     global_buffer
      - .actual_access:  read_only
        .address_space:  global
        .offset:         56
        .size:           8
        .value_kind:     global_buffer
      - .offset:         64
        .size:           4
        .value_kind:     by_value
      - .actual_access:  read_only
        .address_space:  global
        .offset:         72
        .size:           8
        .value_kind:     global_buffer
      - .offset:         80
        .size:           8
        .value_kind:     by_value
      - .address_space:  global
        .offset:         88
        .size:           8
        .value_kind:     global_buffer
      - .offset:         96
        .size:           4
        .value_kind:     by_value
      - .offset:         100
        .size:           1
        .value_kind:     by_value
    .group_segment_fixed_size: 0
    .kernarg_segment_align: 8
    .kernarg_segment_size: 104
    .language:       OpenCL C
    .language_version:
      - 2
      - 0
    .max_flat_workgroup_size: 64
    .name:           _ZN9rocsparseL22bsrxmvn_general_kernelILj64ELj8EdlidddEEv20rocsparse_direction_NS_24const_host_device_scalarIT1_EET3_PKS5_PKT2_SA_S7_PKT4_S5_PKT5_S4_PT6_21rocsparse_index_base_b
    .private_segment_fixed_size: 0
    .sgpr_count:     46
    .sgpr_spill_count: 0
    .symbol:         _ZN9rocsparseL22bsrxmvn_general_kernelILj64ELj8EdlidddEEv20rocsparse_direction_NS_24const_host_device_scalarIT1_EET3_PKS5_PKT2_SA_S7_PKT4_S5_PKT5_S4_PT6_21rocsparse_index_base_b.kd
    .uniform_work_group_size: 1
    .uses_dynamic_stack: false
    .vgpr_count:     24
    .vgpr_spill_count: 0
    .wavefront_size: 64
  - .agpr_count:     0
    .args:
      - .offset:         0
        .size:           4
        .value_kind:     by_value
      - .offset:         8
        .size:           8
        .value_kind:     by_value
      - .offset:         16
        .size:           4
        .value_kind:     by_value
      - .actual_access:  read_only
        .address_space:  global
        .offset:         24
        .size:           8
        .value_kind:     global_buffer
      - .actual_access:  read_only
        .address_space:  global
        .offset:         32
        .size:           8
        .value_kind:     global_buffer
      - .actual_access:  read_only
        .address_space:  global
        .offset:         40
        .size:           8
        .value_kind:     global_buffer
      - .actual_access:  read_only
        .address_space:  global
        .offset:         48
        .size:           8
        .value_kind:     global_buffer
      - .actual_access:  read_only
        .address_space:  global
        .offset:         56
        .size:           8
        .value_kind:     global_buffer
      - .offset:         64
        .size:           4
        .value_kind:     by_value
      - .actual_access:  read_only
        .address_space:  global
        .offset:         72
        .size:           8
        .value_kind:     global_buffer
      - .offset:         80
        .size:           8
        .value_kind:     by_value
      - .address_space:  global
        .offset:         88
        .size:           8
        .value_kind:     global_buffer
      - .offset:         96
        .size:           4
        .value_kind:     by_value
      - .offset:         100
        .size:           1
        .value_kind:     by_value
    .group_segment_fixed_size: 0
    .kernarg_segment_align: 8
    .kernarg_segment_size: 104
    .language:       OpenCL C
    .language_version:
      - 2
      - 0
    .max_flat_workgroup_size: 256
    .name:           _ZN9rocsparseL22bsrxmvn_general_kernelILj256ELj16EdlidddEEv20rocsparse_direction_NS_24const_host_device_scalarIT1_EET3_PKS5_PKT2_SA_S7_PKT4_S5_PKT5_S4_PT6_21rocsparse_index_base_b
    .private_segment_fixed_size: 0
    .sgpr_count:     46
    .sgpr_spill_count: 0
    .symbol:         _ZN9rocsparseL22bsrxmvn_general_kernelILj256ELj16EdlidddEEv20rocsparse_direction_NS_24const_host_device_scalarIT1_EET3_PKS5_PKT2_SA_S7_PKT4_S5_PKT5_S4_PT6_21rocsparse_index_base_b.kd
    .uniform_work_group_size: 1
    .uses_dynamic_stack: false
    .vgpr_count:     24
    .vgpr_spill_count: 0
    .wavefront_size: 64
  - .agpr_count:     0
    .args:
      - .offset:         0
        .size:           4
        .value_kind:     by_value
      - .offset:         8
        .size:           8
        .value_kind:     by_value
      - .offset:         16
        .size:           4
        .value_kind:     by_value
      - .actual_access:  read_only
        .address_space:  global
        .offset:         24
        .size:           8
        .value_kind:     global_buffer
      - .actual_access:  read_only
        .address_space:  global
        .offset:         32
        .size:           8
        .value_kind:     global_buffer
      - .actual_access:  read_only
        .address_space:  global
        .offset:         40
        .size:           8
        .value_kind:     global_buffer
      - .actual_access:  read_only
        .address_space:  global
        .offset:         48
        .size:           8
        .value_kind:     global_buffer
      - .actual_access:  read_only
        .address_space:  global
        .offset:         56
        .size:           8
        .value_kind:     global_buffer
      - .offset:         64
        .size:           4
        .value_kind:     by_value
      - .actual_access:  read_only
        .address_space:  global
        .offset:         72
        .size:           8
        .value_kind:     global_buffer
      - .offset:         80
        .size:           8
        .value_kind:     by_value
      - .address_space:  global
        .offset:         88
        .size:           8
        .value_kind:     global_buffer
      - .offset:         96
        .size:           4
        .value_kind:     by_value
      - .offset:         100
        .size:           1
        .value_kind:     by_value
    .group_segment_fixed_size: 0
    .kernarg_segment_align: 8
    .kernarg_segment_size: 104
    .language:       OpenCL C
    .language_version:
      - 2
      - 0
    .max_flat_workgroup_size: 1024
    .name:           _ZN9rocsparseL22bsrxmvn_general_kernelILj1024ELj32EdlidddEEv20rocsparse_direction_NS_24const_host_device_scalarIT1_EET3_PKS5_PKT2_SA_S7_PKT4_S5_PKT5_S4_PT6_21rocsparse_index_base_b
    .private_segment_fixed_size: 0
    .sgpr_count:     46
    .sgpr_spill_count: 0
    .symbol:         _ZN9rocsparseL22bsrxmvn_general_kernelILj1024ELj32EdlidddEEv20rocsparse_direction_NS_24const_host_device_scalarIT1_EET3_PKS5_PKT2_SA_S7_PKT4_S5_PKT5_S4_PT6_21rocsparse_index_base_b.kd
    .uniform_work_group_size: 1
    .uses_dynamic_stack: false
    .vgpr_count:     24
    .vgpr_spill_count: 0
    .wavefront_size: 64
  - .agpr_count:     0
    .args:
      - .offset:         0
        .size:           4
        .value_kind:     by_value
      - .offset:         8
        .size:           8
        .value_kind:     by_value
      - .offset:         16
        .size:           4
        .value_kind:     by_value
      - .actual_access:  read_only
        .address_space:  global
        .offset:         24
        .size:           8
        .value_kind:     global_buffer
      - .actual_access:  read_only
        .address_space:  global
        .offset:         32
        .size:           8
        .value_kind:     global_buffer
      - .actual_access:  read_only
        .address_space:  global
        .offset:         40
        .size:           8
        .value_kind:     global_buffer
      - .actual_access:  read_only
        .address_space:  global
        .offset:         48
        .size:           8
        .value_kind:     global_buffer
      - .actual_access:  read_only
        .address_space:  global
        .offset:         56
        .size:           8
        .value_kind:     global_buffer
      - .offset:         64
        .size:           4
        .value_kind:     by_value
      - .actual_access:  read_only
        .address_space:  global
        .offset:         72
        .size:           8
        .value_kind:     global_buffer
      - .offset:         80
        .size:           8
        .value_kind:     by_value
      - .address_space:  global
        .offset:         88
        .size:           8
        .value_kind:     global_buffer
      - .offset:         96
        .size:           4
        .value_kind:     by_value
      - .offset:         100
        .size:           1
        .value_kind:     by_value
    .group_segment_fixed_size: 0
    .kernarg_segment_align: 8
    .kernarg_segment_size: 104
    .language:       OpenCL C
    .language_version:
      - 2
      - 0
    .max_flat_workgroup_size: 64
    .name:           _ZN9rocsparseL22bsrxmvn_general_kernelILj64ELj8E21rocsparse_complex_numIfEliS2_S2_S2_EEv20rocsparse_direction_NS_24const_host_device_scalarIT1_EET3_PKS7_PKT2_SC_S9_PKT4_S7_PKT5_S6_PT6_21rocsparse_index_base_b
    .private_segment_fixed_size: 0
    .sgpr_count:     47
    .sgpr_spill_count: 0
    .symbol:         _ZN9rocsparseL22bsrxmvn_general_kernelILj64ELj8E21rocsparse_complex_numIfEliS2_S2_S2_EEv20rocsparse_direction_NS_24const_host_device_scalarIT1_EET3_PKS7_PKT2_SC_S9_PKT4_S7_PKT5_S6_PT6_21rocsparse_index_base_b.kd
    .uniform_work_group_size: 1
    .uses_dynamic_stack: false
    .vgpr_count:     32
    .vgpr_spill_count: 0
    .wavefront_size: 64
  - .agpr_count:     0
    .args:
      - .offset:         0
        .size:           4
        .value_kind:     by_value
      - .offset:         8
        .size:           8
        .value_kind:     by_value
      - .offset:         16
        .size:           4
        .value_kind:     by_value
      - .actual_access:  read_only
        .address_space:  global
        .offset:         24
        .size:           8
        .value_kind:     global_buffer
      - .actual_access:  read_only
        .address_space:  global
        .offset:         32
        .size:           8
        .value_kind:     global_buffer
      - .actual_access:  read_only
        .address_space:  global
        .offset:         40
        .size:           8
        .value_kind:     global_buffer
      - .actual_access:  read_only
        .address_space:  global
        .offset:         48
        .size:           8
        .value_kind:     global_buffer
      - .actual_access:  read_only
        .address_space:  global
        .offset:         56
        .size:           8
        .value_kind:     global_buffer
      - .offset:         64
        .size:           4
        .value_kind:     by_value
      - .actual_access:  read_only
        .address_space:  global
        .offset:         72
        .size:           8
        .value_kind:     global_buffer
      - .offset:         80
        .size:           8
        .value_kind:     by_value
      - .address_space:  global
        .offset:         88
        .size:           8
        .value_kind:     global_buffer
      - .offset:         96
        .size:           4
        .value_kind:     by_value
      - .offset:         100
        .size:           1
        .value_kind:     by_value
    .group_segment_fixed_size: 0
    .kernarg_segment_align: 8
    .kernarg_segment_size: 104
    .language:       OpenCL C
    .language_version:
      - 2
      - 0
    .max_flat_workgroup_size: 256
    .name:           _ZN9rocsparseL22bsrxmvn_general_kernelILj256ELj16E21rocsparse_complex_numIfEliS2_S2_S2_EEv20rocsparse_direction_NS_24const_host_device_scalarIT1_EET3_PKS7_PKT2_SC_S9_PKT4_S7_PKT5_S6_PT6_21rocsparse_index_base_b
    .private_segment_fixed_size: 0
    .sgpr_count:     47
    .sgpr_spill_count: 0
    .symbol:         _ZN9rocsparseL22bsrxmvn_general_kernelILj256ELj16E21rocsparse_complex_numIfEliS2_S2_S2_EEv20rocsparse_direction_NS_24const_host_device_scalarIT1_EET3_PKS7_PKT2_SC_S9_PKT4_S7_PKT5_S6_PT6_21rocsparse_index_base_b.kd
    .uniform_work_group_size: 1
    .uses_dynamic_stack: false
    .vgpr_count:     32
    .vgpr_spill_count: 0
    .wavefront_size: 64
  - .agpr_count:     0
    .args:
      - .offset:         0
        .size:           4
        .value_kind:     by_value
      - .offset:         8
        .size:           8
        .value_kind:     by_value
      - .offset:         16
        .size:           4
        .value_kind:     by_value
      - .actual_access:  read_only
        .address_space:  global
        .offset:         24
        .size:           8
        .value_kind:     global_buffer
      - .actual_access:  read_only
        .address_space:  global
        .offset:         32
        .size:           8
        .value_kind:     global_buffer
      - .actual_access:  read_only
        .address_space:  global
        .offset:         40
        .size:           8
        .value_kind:     global_buffer
      - .actual_access:  read_only
        .address_space:  global
        .offset:         48
        .size:           8
        .value_kind:     global_buffer
      - .actual_access:  read_only
        .address_space:  global
        .offset:         56
        .size:           8
        .value_kind:     global_buffer
      - .offset:         64
        .size:           4
        .value_kind:     by_value
      - .actual_access:  read_only
        .address_space:  global
        .offset:         72
        .size:           8
        .value_kind:     global_buffer
      - .offset:         80
        .size:           8
        .value_kind:     by_value
      - .address_space:  global
        .offset:         88
        .size:           8
        .value_kind:     global_buffer
      - .offset:         96
        .size:           4
        .value_kind:     by_value
      - .offset:         100
        .size:           1
        .value_kind:     by_value
    .group_segment_fixed_size: 0
    .kernarg_segment_align: 8
    .kernarg_segment_size: 104
    .language:       OpenCL C
    .language_version:
      - 2
      - 0
    .max_flat_workgroup_size: 1024
    .name:           _ZN9rocsparseL22bsrxmvn_general_kernelILj1024ELj32E21rocsparse_complex_numIfEliS2_S2_S2_EEv20rocsparse_direction_NS_24const_host_device_scalarIT1_EET3_PKS7_PKT2_SC_S9_PKT4_S7_PKT5_S6_PT6_21rocsparse_index_base_b
    .private_segment_fixed_size: 0
    .sgpr_count:     47
    .sgpr_spill_count: 0
    .symbol:         _ZN9rocsparseL22bsrxmvn_general_kernelILj1024ELj32E21rocsparse_complex_numIfEliS2_S2_S2_EEv20rocsparse_direction_NS_24const_host_device_scalarIT1_EET3_PKS7_PKT2_SC_S9_PKT4_S7_PKT5_S6_PT6_21rocsparse_index_base_b.kd
    .uniform_work_group_size: 1
    .uses_dynamic_stack: false
    .vgpr_count:     32
    .vgpr_spill_count: 0
    .wavefront_size: 64
  - .agpr_count:     0
    .args:
      - .offset:         0
        .size:           4
        .value_kind:     by_value
      - .offset:         8
        .size:           16
        .value_kind:     by_value
      - .offset:         24
        .size:           4
        .value_kind:     by_value
      - .actual_access:  read_only
        .address_space:  global
        .offset:         32
        .size:           8
        .value_kind:     global_buffer
      - .actual_access:  read_only
        .address_space:  global
        .offset:         40
        .size:           8
        .value_kind:     global_buffer
      - .actual_access:  read_only
        .address_space:  global
        .offset:         48
        .size:           8
        .value_kind:     global_buffer
      - .actual_access:  read_only
        .address_space:  global
        .offset:         56
        .size:           8
        .value_kind:     global_buffer
      - .actual_access:  read_only
        .address_space:  global
        .offset:         64
        .size:           8
        .value_kind:     global_buffer
      - .offset:         72
        .size:           4
        .value_kind:     by_value
      - .actual_access:  read_only
        .address_space:  global
        .offset:         80
        .size:           8
        .value_kind:     global_buffer
      - .offset:         88
        .size:           16
        .value_kind:     by_value
      - .address_space:  global
        .offset:         104
        .size:           8
        .value_kind:     global_buffer
      - .offset:         112
        .size:           4
        .value_kind:     by_value
      - .offset:         116
        .size:           1
        .value_kind:     by_value
    .group_segment_fixed_size: 1024
    .kernarg_segment_align: 8
    .kernarg_segment_size: 120
    .language:       OpenCL C
    .language_version:
      - 2
      - 0
    .max_flat_workgroup_size: 64
    .name:           _ZN9rocsparseL22bsrxmvn_general_kernelILj64ELj8E21rocsparse_complex_numIdEliS2_S2_S2_EEv20rocsparse_direction_NS_24const_host_device_scalarIT1_EET3_PKS7_PKT2_SC_S9_PKT4_S7_PKT5_S6_PT6_21rocsparse_index_base_b
    .private_segment_fixed_size: 0
    .sgpr_count:     46
    .sgpr_spill_count: 0
    .symbol:         _ZN9rocsparseL22bsrxmvn_general_kernelILj64ELj8E21rocsparse_complex_numIdEliS2_S2_S2_EEv20rocsparse_direction_NS_24const_host_device_scalarIT1_EET3_PKS7_PKT2_SC_S9_PKT4_S7_PKT5_S6_PT6_21rocsparse_index_base_b.kd
    .uniform_work_group_size: 1
    .uses_dynamic_stack: false
    .vgpr_count:     36
    .vgpr_spill_count: 0
    .wavefront_size: 64
  - .agpr_count:     0
    .args:
      - .offset:         0
        .size:           4
        .value_kind:     by_value
      - .offset:         8
        .size:           16
        .value_kind:     by_value
      - .offset:         24
        .size:           4
        .value_kind:     by_value
      - .actual_access:  read_only
        .address_space:  global
        .offset:         32
        .size:           8
        .value_kind:     global_buffer
      - .actual_access:  read_only
        .address_space:  global
        .offset:         40
        .size:           8
        .value_kind:     global_buffer
      - .actual_access:  read_only
        .address_space:  global
        .offset:         48
        .size:           8
        .value_kind:     global_buffer
      - .actual_access:  read_only
        .address_space:  global
        .offset:         56
        .size:           8
        .value_kind:     global_buffer
      - .actual_access:  read_only
        .address_space:  global
        .offset:         64
        .size:           8
        .value_kind:     global_buffer
      - .offset:         72
        .size:           4
        .value_kind:     by_value
      - .actual_access:  read_only
        .address_space:  global
        .offset:         80
        .size:           8
        .value_kind:     global_buffer
      - .offset:         88
        .size:           16
        .value_kind:     by_value
      - .address_space:  global
        .offset:         104
        .size:           8
        .value_kind:     global_buffer
      - .offset:         112
        .size:           4
        .value_kind:     by_value
      - .offset:         116
        .size:           1
        .value_kind:     by_value
    .group_segment_fixed_size: 4096
    .kernarg_segment_align: 8
    .kernarg_segment_size: 120
    .language:       OpenCL C
    .language_version:
      - 2
      - 0
    .max_flat_workgroup_size: 256
    .name:           _ZN9rocsparseL22bsrxmvn_general_kernelILj256ELj16E21rocsparse_complex_numIdEliS2_S2_S2_EEv20rocsparse_direction_NS_24const_host_device_scalarIT1_EET3_PKS7_PKT2_SC_S9_PKT4_S7_PKT5_S6_PT6_21rocsparse_index_base_b
    .private_segment_fixed_size: 0
    .sgpr_count:     46
    .sgpr_spill_count: 0
    .symbol:         _ZN9rocsparseL22bsrxmvn_general_kernelILj256ELj16E21rocsparse_complex_numIdEliS2_S2_S2_EEv20rocsparse_direction_NS_24const_host_device_scalarIT1_EET3_PKS7_PKT2_SC_S9_PKT4_S7_PKT5_S6_PT6_21rocsparse_index_base_b.kd
    .uniform_work_group_size: 1
    .uses_dynamic_stack: false
    .vgpr_count:     36
    .vgpr_spill_count: 0
    .wavefront_size: 64
  - .agpr_count:     0
    .args:
      - .offset:         0
        .size:           4
        .value_kind:     by_value
      - .offset:         8
        .size:           16
        .value_kind:     by_value
      - .offset:         24
        .size:           4
        .value_kind:     by_value
      - .actual_access:  read_only
        .address_space:  global
        .offset:         32
        .size:           8
        .value_kind:     global_buffer
      - .actual_access:  read_only
        .address_space:  global
        .offset:         40
        .size:           8
        .value_kind:     global_buffer
      - .actual_access:  read_only
        .address_space:  global
        .offset:         48
        .size:           8
        .value_kind:     global_buffer
      - .actual_access:  read_only
        .address_space:  global
        .offset:         56
        .size:           8
        .value_kind:     global_buffer
      - .actual_access:  read_only
        .address_space:  global
        .offset:         64
        .size:           8
        .value_kind:     global_buffer
      - .offset:         72
        .size:           4
        .value_kind:     by_value
      - .actual_access:  read_only
        .address_space:  global
        .offset:         80
        .size:           8
        .value_kind:     global_buffer
      - .offset:         88
        .size:           16
        .value_kind:     by_value
      - .address_space:  global
        .offset:         104
        .size:           8
        .value_kind:     global_buffer
      - .offset:         112
        .size:           4
        .value_kind:     by_value
      - .offset:         116
        .size:           1
        .value_kind:     by_value
    .group_segment_fixed_size: 16384
    .kernarg_segment_align: 8
    .kernarg_segment_size: 120
    .language:       OpenCL C
    .language_version:
      - 2
      - 0
    .max_flat_workgroup_size: 1024
    .name:           _ZN9rocsparseL22bsrxmvn_general_kernelILj1024ELj32E21rocsparse_complex_numIdEliS2_S2_S2_EEv20rocsparse_direction_NS_24const_host_device_scalarIT1_EET3_PKS7_PKT2_SC_S9_PKT4_S7_PKT5_S6_PT6_21rocsparse_index_base_b
    .private_segment_fixed_size: 0
    .sgpr_count:     46
    .sgpr_spill_count: 0
    .symbol:         _ZN9rocsparseL22bsrxmvn_general_kernelILj1024ELj32E21rocsparse_complex_numIdEliS2_S2_S2_EEv20rocsparse_direction_NS_24const_host_device_scalarIT1_EET3_PKS7_PKT2_SC_S9_PKT4_S7_PKT5_S6_PT6_21rocsparse_index_base_b.kd
    .uniform_work_group_size: 1
    .uses_dynamic_stack: false
    .vgpr_count:     36
    .vgpr_spill_count: 0
    .wavefront_size: 64
  - .agpr_count:     0
    .args:
      - .offset:         0
        .size:           4
        .value_kind:     by_value
      - .offset:         8
        .size:           8
        .value_kind:     by_value
      - .offset:         16
        .size:           8
        .value_kind:     by_value
      - .actual_access:  read_only
        .address_space:  global
        .offset:         24
        .size:           8
        .value_kind:     global_buffer
      - .actual_access:  read_only
        .address_space:  global
        .offset:         32
        .size:           8
        .value_kind:     global_buffer
      - .actual_access:  read_only
        .address_space:  global
        .offset:         40
        .size:           8
        .value_kind:     global_buffer
      - .actual_access:  read_only
        .address_space:  global
        .offset:         48
        .size:           8
        .value_kind:     global_buffer
      - .actual_access:  read_only
        .address_space:  global
        .offset:         56
        .size:           8
        .value_kind:     global_buffer
      - .offset:         64
        .size:           8
        .value_kind:     by_value
      - .actual_access:  read_only
        .address_space:  global
        .offset:         72
        .size:           8
        .value_kind:     global_buffer
      - .offset:         80
        .size:           8
        .value_kind:     by_value
      - .address_space:  global
        .offset:         88
        .size:           8
        .value_kind:     global_buffer
      - .offset:         96
        .size:           4
        .value_kind:     by_value
      - .offset:         100
        .size:           1
        .value_kind:     by_value
    .group_segment_fixed_size: 0
    .kernarg_segment_align: 8
    .kernarg_segment_size: 104
    .language:       OpenCL C
    .language_version:
      - 2
      - 0
    .max_flat_workgroup_size: 64
    .name:           _ZN9rocsparseL22bsrxmvn_general_kernelILj64ELj8EfllfffEEv20rocsparse_direction_NS_24const_host_device_scalarIT1_EET3_PKS5_PKT2_SA_S7_PKT4_S5_PKT5_S4_PT6_21rocsparse_index_base_b
    .private_segment_fixed_size: 0
    .sgpr_count:     48
    .sgpr_spill_count: 0
    .symbol:         _ZN9rocsparseL22bsrxmvn_general_kernelILj64ELj8EfllfffEEv20rocsparse_direction_NS_24const_host_device_scalarIT1_EET3_PKS5_PKT2_SA_S7_PKT4_S5_PKT5_S4_PT6_21rocsparse_index_base_b.kd
    .uniform_work_group_size: 1
    .uses_dynamic_stack: false
    .vgpr_count:     19
    .vgpr_spill_count: 0
    .wavefront_size: 64
  - .agpr_count:     0
    .args:
      - .offset:         0
        .size:           4
        .value_kind:     by_value
      - .offset:         8
        .size:           8
        .value_kind:     by_value
      - .offset:         16
        .size:           8
        .value_kind:     by_value
      - .actual_access:  read_only
        .address_space:  global
        .offset:         24
        .size:           8
        .value_kind:     global_buffer
      - .actual_access:  read_only
        .address_space:  global
        .offset:         32
        .size:           8
        .value_kind:     global_buffer
      - .actual_access:  read_only
        .address_space:  global
        .offset:         40
        .size:           8
        .value_kind:     global_buffer
      - .actual_access:  read_only
        .address_space:  global
        .offset:         48
        .size:           8
        .value_kind:     global_buffer
      - .actual_access:  read_only
        .address_space:  global
        .offset:         56
        .size:           8
        .value_kind:     global_buffer
      - .offset:         64
        .size:           8
        .value_kind:     by_value
      - .actual_access:  read_only
        .address_space:  global
        .offset:         72
        .size:           8
        .value_kind:     global_buffer
      - .offset:         80
        .size:           8
        .value_kind:     by_value
      - .address_space:  global
        .offset:         88
        .size:           8
        .value_kind:     global_buffer
      - .offset:         96
        .size:           4
        .value_kind:     by_value
      - .offset:         100
        .size:           1
        .value_kind:     by_value
    .group_segment_fixed_size: 0
    .kernarg_segment_align: 8
    .kernarg_segment_size: 104
    .language:       OpenCL C
    .language_version:
      - 2
      - 0
    .max_flat_workgroup_size: 256
    .name:           _ZN9rocsparseL22bsrxmvn_general_kernelILj256ELj16EfllfffEEv20rocsparse_direction_NS_24const_host_device_scalarIT1_EET3_PKS5_PKT2_SA_S7_PKT4_S5_PKT5_S4_PT6_21rocsparse_index_base_b
    .private_segment_fixed_size: 0
    .sgpr_count:     48
    .sgpr_spill_count: 0
    .symbol:         _ZN9rocsparseL22bsrxmvn_general_kernelILj256ELj16EfllfffEEv20rocsparse_direction_NS_24const_host_device_scalarIT1_EET3_PKS5_PKT2_SA_S7_PKT4_S5_PKT5_S4_PT6_21rocsparse_index_base_b.kd
    .uniform_work_group_size: 1
    .uses_dynamic_stack: false
    .vgpr_count:     19
    .vgpr_spill_count: 0
    .wavefront_size: 64
  - .agpr_count:     0
    .args:
      - .offset:         0
        .size:           4
        .value_kind:     by_value
      - .offset:         8
        .size:           8
        .value_kind:     by_value
      - .offset:         16
        .size:           8
        .value_kind:     by_value
      - .actual_access:  read_only
        .address_space:  global
        .offset:         24
        .size:           8
        .value_kind:     global_buffer
      - .actual_access:  read_only
        .address_space:  global
        .offset:         32
        .size:           8
        .value_kind:     global_buffer
      - .actual_access:  read_only
        .address_space:  global
        .offset:         40
        .size:           8
        .value_kind:     global_buffer
      - .actual_access:  read_only
        .address_space:  global
        .offset:         48
        .size:           8
        .value_kind:     global_buffer
      - .actual_access:  read_only
        .address_space:  global
        .offset:         56
        .size:           8
        .value_kind:     global_buffer
      - .offset:         64
        .size:           8
        .value_kind:     by_value
      - .actual_access:  read_only
        .address_space:  global
        .offset:         72
        .size:           8
        .value_kind:     global_buffer
      - .offset:         80
        .size:           8
        .value_kind:     by_value
      - .address_space:  global
        .offset:         88
        .size:           8
        .value_kind:     global_buffer
      - .offset:         96
        .size:           4
        .value_kind:     by_value
      - .offset:         100
        .size:           1
        .value_kind:     by_value
    .group_segment_fixed_size: 0
    .kernarg_segment_align: 8
    .kernarg_segment_size: 104
    .language:       OpenCL C
    .language_version:
      - 2
      - 0
    .max_flat_workgroup_size: 1024
    .name:           _ZN9rocsparseL22bsrxmvn_general_kernelILj1024ELj32EfllfffEEv20rocsparse_direction_NS_24const_host_device_scalarIT1_EET3_PKS5_PKT2_SA_S7_PKT4_S5_PKT5_S4_PT6_21rocsparse_index_base_b
    .private_segment_fixed_size: 0
    .sgpr_count:     48
    .sgpr_spill_count: 0
    .symbol:         _ZN9rocsparseL22bsrxmvn_general_kernelILj1024ELj32EfllfffEEv20rocsparse_direction_NS_24const_host_device_scalarIT1_EET3_PKS5_PKT2_SA_S7_PKT4_S5_PKT5_S4_PT6_21rocsparse_index_base_b.kd
    .uniform_work_group_size: 1
    .uses_dynamic_stack: false
    .vgpr_count:     19
    .vgpr_spill_count: 0
    .wavefront_size: 64
  - .agpr_count:     0
    .args:
      - .offset:         0
        .size:           4
        .value_kind:     by_value
      - .offset:         8
        .size:           8
        .value_kind:     by_value
      - .offset:         16
        .size:           8
        .value_kind:     by_value
      - .actual_access:  read_only
        .address_space:  global
        .offset:         24
        .size:           8
        .value_kind:     global_buffer
      - .actual_access:  read_only
        .address_space:  global
        .offset:         32
        .size:           8
        .value_kind:     global_buffer
      - .actual_access:  read_only
        .address_space:  global
        .offset:         40
        .size:           8
        .value_kind:     global_buffer
      - .actual_access:  read_only
        .address_space:  global
        .offset:         48
        .size:           8
        .value_kind:     global_buffer
      - .actual_access:  read_only
        .address_space:  global
        .offset:         56
        .size:           8
        .value_kind:     global_buffer
      - .offset:         64
        .size:           8
        .value_kind:     by_value
      - .actual_access:  read_only
        .address_space:  global
        .offset:         72
        .size:           8
        .value_kind:     global_buffer
      - .offset:         80
        .size:           8
        .value_kind:     by_value
      - .address_space:  global
        .offset:         88
        .size:           8
        .value_kind:     global_buffer
      - .offset:         96
        .size:           4
        .value_kind:     by_value
      - .offset:         100
        .size:           1
        .value_kind:     by_value
    .group_segment_fixed_size: 0
    .kernarg_segment_align: 8
    .kernarg_segment_size: 104
    .language:       OpenCL C
    .language_version:
      - 2
      - 0
    .max_flat_workgroup_size: 64
    .name:           _ZN9rocsparseL22bsrxmvn_general_kernelILj64ELj8EdlldddEEv20rocsparse_direction_NS_24const_host_device_scalarIT1_EET3_PKS5_PKT2_SA_S7_PKT4_S5_PKT5_S4_PT6_21rocsparse_index_base_b
    .private_segment_fixed_size: 0
    .sgpr_count:     44
    .sgpr_spill_count: 0
    .symbol:         _ZN9rocsparseL22bsrxmvn_general_kernelILj64ELj8EdlldddEEv20rocsparse_direction_NS_24const_host_device_scalarIT1_EET3_PKS5_PKT2_SA_S7_PKT4_S5_PKT5_S4_PT6_21rocsparse_index_base_b.kd
    .uniform_work_group_size: 1
    .uses_dynamic_stack: false
    .vgpr_count:     26
    .vgpr_spill_count: 0
    .wavefront_size: 64
  - .agpr_count:     0
    .args:
      - .offset:         0
        .size:           4
        .value_kind:     by_value
      - .offset:         8
        .size:           8
        .value_kind:     by_value
      - .offset:         16
        .size:           8
        .value_kind:     by_value
      - .actual_access:  read_only
        .address_space:  global
        .offset:         24
        .size:           8
        .value_kind:     global_buffer
      - .actual_access:  read_only
        .address_space:  global
        .offset:         32
        .size:           8
        .value_kind:     global_buffer
      - .actual_access:  read_only
        .address_space:  global
        .offset:         40
        .size:           8
        .value_kind:     global_buffer
      - .actual_access:  read_only
        .address_space:  global
        .offset:         48
        .size:           8
        .value_kind:     global_buffer
      - .actual_access:  read_only
        .address_space:  global
        .offset:         56
        .size:           8
        .value_kind:     global_buffer
      - .offset:         64
        .size:           8
        .value_kind:     by_value
      - .actual_access:  read_only
        .address_space:  global
        .offset:         72
        .size:           8
        .value_kind:     global_buffer
      - .offset:         80
        .size:           8
        .value_kind:     by_value
      - .address_space:  global
        .offset:         88
        .size:           8
        .value_kind:     global_buffer
      - .offset:         96
        .size:           4
        .value_kind:     by_value
      - .offset:         100
        .size:           1
        .value_kind:     by_value
    .group_segment_fixed_size: 0
    .kernarg_segment_align: 8
    .kernarg_segment_size: 104
    .language:       OpenCL C
    .language_version:
      - 2
      - 0
    .max_flat_workgroup_size: 256
    .name:           _ZN9rocsparseL22bsrxmvn_general_kernelILj256ELj16EdlldddEEv20rocsparse_direction_NS_24const_host_device_scalarIT1_EET3_PKS5_PKT2_SA_S7_PKT4_S5_PKT5_S4_PT6_21rocsparse_index_base_b
    .private_segment_fixed_size: 0
    .sgpr_count:     46
    .sgpr_spill_count: 0
    .symbol:         _ZN9rocsparseL22bsrxmvn_general_kernelILj256ELj16EdlldddEEv20rocsparse_direction_NS_24const_host_device_scalarIT1_EET3_PKS5_PKT2_SA_S7_PKT4_S5_PKT5_S4_PT6_21rocsparse_index_base_b.kd
    .uniform_work_group_size: 1
    .uses_dynamic_stack: false
    .vgpr_count:     26
    .vgpr_spill_count: 0
    .wavefront_size: 64
  - .agpr_count:     0
    .args:
      - .offset:         0
        .size:           4
        .value_kind:     by_value
      - .offset:         8
        .size:           8
        .value_kind:     by_value
      - .offset:         16
        .size:           8
        .value_kind:     by_value
      - .actual_access:  read_only
        .address_space:  global
        .offset:         24
        .size:           8
        .value_kind:     global_buffer
      - .actual_access:  read_only
        .address_space:  global
        .offset:         32
        .size:           8
        .value_kind:     global_buffer
      - .actual_access:  read_only
        .address_space:  global
        .offset:         40
        .size:           8
        .value_kind:     global_buffer
      - .actual_access:  read_only
        .address_space:  global
        .offset:         48
        .size:           8
        .value_kind:     global_buffer
      - .actual_access:  read_only
        .address_space:  global
        .offset:         56
        .size:           8
        .value_kind:     global_buffer
      - .offset:         64
        .size:           8
        .value_kind:     by_value
      - .actual_access:  read_only
        .address_space:  global
        .offset:         72
        .size:           8
        .value_kind:     global_buffer
      - .offset:         80
        .size:           8
        .value_kind:     by_value
      - .address_space:  global
        .offset:         88
        .size:           8
        .value_kind:     global_buffer
      - .offset:         96
        .size:           4
        .value_kind:     by_value
      - .offset:         100
        .size:           1
        .value_kind:     by_value
    .group_segment_fixed_size: 0
    .kernarg_segment_align: 8
    .kernarg_segment_size: 104
    .language:       OpenCL C
    .language_version:
      - 2
      - 0
    .max_flat_workgroup_size: 1024
    .name:           _ZN9rocsparseL22bsrxmvn_general_kernelILj1024ELj32EdlldddEEv20rocsparse_direction_NS_24const_host_device_scalarIT1_EET3_PKS5_PKT2_SA_S7_PKT4_S5_PKT5_S4_PT6_21rocsparse_index_base_b
    .private_segment_fixed_size: 0
    .sgpr_count:     46
    .sgpr_spill_count: 0
    .symbol:         _ZN9rocsparseL22bsrxmvn_general_kernelILj1024ELj32EdlldddEEv20rocsparse_direction_NS_24const_host_device_scalarIT1_EET3_PKS5_PKT2_SA_S7_PKT4_S5_PKT5_S4_PT6_21rocsparse_index_base_b.kd
    .uniform_work_group_size: 1
    .uses_dynamic_stack: false
    .vgpr_count:     26
    .vgpr_spill_count: 0
    .wavefront_size: 64
  - .agpr_count:     0
    .args:
      - .offset:         0
        .size:           4
        .value_kind:     by_value
      - .offset:         8
        .size:           8
        .value_kind:     by_value
      - .offset:         16
        .size:           8
        .value_kind:     by_value
      - .actual_access:  read_only
        .address_space:  global
        .offset:         24
        .size:           8
        .value_kind:     global_buffer
      - .actual_access:  read_only
        .address_space:  global
        .offset:         32
        .size:           8
        .value_kind:     global_buffer
      - .actual_access:  read_only
        .address_space:  global
        .offset:         40
        .size:           8
        .value_kind:     global_buffer
      - .actual_access:  read_only
        .address_space:  global
        .offset:         48
        .size:           8
        .value_kind:     global_buffer
      - .actual_access:  read_only
        .address_space:  global
        .offset:         56
        .size:           8
        .value_kind:     global_buffer
      - .offset:         64
        .size:           8
        .value_kind:     by_value
      - .actual_access:  read_only
        .address_space:  global
        .offset:         72
        .size:           8
        .value_kind:     global_buffer
      - .offset:         80
        .size:           8
        .value_kind:     by_value
      - .address_space:  global
        .offset:         88
        .size:           8
        .value_kind:     global_buffer
      - .offset:         96
        .size:           4
        .value_kind:     by_value
      - .offset:         100
        .size:           1
        .value_kind:     by_value
    .group_segment_fixed_size: 0
    .kernarg_segment_align: 8
    .kernarg_segment_size: 104
    .language:       OpenCL C
    .language_version:
      - 2
      - 0
    .max_flat_workgroup_size: 64
    .name:           _ZN9rocsparseL22bsrxmvn_general_kernelILj64ELj8E21rocsparse_complex_numIfEllS2_S2_S2_EEv20rocsparse_direction_NS_24const_host_device_scalarIT1_EET3_PKS7_PKT2_SC_S9_PKT4_S7_PKT5_S6_PT6_21rocsparse_index_base_b
    .private_segment_fixed_size: 0
    .sgpr_count:     45
    .sgpr_spill_count: 0
    .symbol:         _ZN9rocsparseL22bsrxmvn_general_kernelILj64ELj8E21rocsparse_complex_numIfEllS2_S2_S2_EEv20rocsparse_direction_NS_24const_host_device_scalarIT1_EET3_PKS7_PKT2_SC_S9_PKT4_S7_PKT5_S6_PT6_21rocsparse_index_base_b.kd
    .uniform_work_group_size: 1
    .uses_dynamic_stack: false
    .vgpr_count:     30
    .vgpr_spill_count: 0
    .wavefront_size: 64
  - .agpr_count:     0
    .args:
      - .offset:         0
        .size:           4
        .value_kind:     by_value
      - .offset:         8
        .size:           8
        .value_kind:     by_value
      - .offset:         16
        .size:           8
        .value_kind:     by_value
      - .actual_access:  read_only
        .address_space:  global
        .offset:         24
        .size:           8
        .value_kind:     global_buffer
      - .actual_access:  read_only
        .address_space:  global
        .offset:         32
        .size:           8
        .value_kind:     global_buffer
      - .actual_access:  read_only
        .address_space:  global
        .offset:         40
        .size:           8
        .value_kind:     global_buffer
      - .actual_access:  read_only
        .address_space:  global
        .offset:         48
        .size:           8
        .value_kind:     global_buffer
      - .actual_access:  read_only
        .address_space:  global
        .offset:         56
        .size:           8
        .value_kind:     global_buffer
      - .offset:         64
        .size:           8
        .value_kind:     by_value
      - .actual_access:  read_only
        .address_space:  global
        .offset:         72
        .size:           8
        .value_kind:     global_buffer
      - .offset:         80
        .size:           8
        .value_kind:     by_value
      - .address_space:  global
        .offset:         88
        .size:           8
        .value_kind:     global_buffer
      - .offset:         96
        .size:           4
        .value_kind:     by_value
      - .offset:         100
        .size:           1
        .value_kind:     by_value
    .group_segment_fixed_size: 0
    .kernarg_segment_align: 8
    .kernarg_segment_size: 104
    .language:       OpenCL C
    .language_version:
      - 2
      - 0
    .max_flat_workgroup_size: 256
    .name:           _ZN9rocsparseL22bsrxmvn_general_kernelILj256ELj16E21rocsparse_complex_numIfEllS2_S2_S2_EEv20rocsparse_direction_NS_24const_host_device_scalarIT1_EET3_PKS7_PKT2_SC_S9_PKT4_S7_PKT5_S6_PT6_21rocsparse_index_base_b
    .private_segment_fixed_size: 0
    .sgpr_count:     47
    .sgpr_spill_count: 0
    .symbol:         _ZN9rocsparseL22bsrxmvn_general_kernelILj256ELj16E21rocsparse_complex_numIfEllS2_S2_S2_EEv20rocsparse_direction_NS_24const_host_device_scalarIT1_EET3_PKS7_PKT2_SC_S9_PKT4_S7_PKT5_S6_PT6_21rocsparse_index_base_b.kd
    .uniform_work_group_size: 1
    .uses_dynamic_stack: false
    .vgpr_count:     30
    .vgpr_spill_count: 0
    .wavefront_size: 64
  - .agpr_count:     0
    .args:
      - .offset:         0
        .size:           4
        .value_kind:     by_value
      - .offset:         8
        .size:           8
        .value_kind:     by_value
      - .offset:         16
        .size:           8
        .value_kind:     by_value
      - .actual_access:  read_only
        .address_space:  global
        .offset:         24
        .size:           8
        .value_kind:     global_buffer
      - .actual_access:  read_only
        .address_space:  global
        .offset:         32
        .size:           8
        .value_kind:     global_buffer
      - .actual_access:  read_only
        .address_space:  global
        .offset:         40
        .size:           8
        .value_kind:     global_buffer
      - .actual_access:  read_only
        .address_space:  global
        .offset:         48
        .size:           8
        .value_kind:     global_buffer
      - .actual_access:  read_only
        .address_space:  global
        .offset:         56
        .size:           8
        .value_kind:     global_buffer
      - .offset:         64
        .size:           8
        .value_kind:     by_value
      - .actual_access:  read_only
        .address_space:  global
        .offset:         72
        .size:           8
        .value_kind:     global_buffer
      - .offset:         80
        .size:           8
        .value_kind:     by_value
      - .address_space:  global
        .offset:         88
        .size:           8
        .value_kind:     global_buffer
      - .offset:         96
        .size:           4
        .value_kind:     by_value
      - .offset:         100
        .size:           1
        .value_kind:     by_value
    .group_segment_fixed_size: 0
    .kernarg_segment_align: 8
    .kernarg_segment_size: 104
    .language:       OpenCL C
    .language_version:
      - 2
      - 0
    .max_flat_workgroup_size: 1024
    .name:           _ZN9rocsparseL22bsrxmvn_general_kernelILj1024ELj32E21rocsparse_complex_numIfEllS2_S2_S2_EEv20rocsparse_direction_NS_24const_host_device_scalarIT1_EET3_PKS7_PKT2_SC_S9_PKT4_S7_PKT5_S6_PT6_21rocsparse_index_base_b
    .private_segment_fixed_size: 0
    .sgpr_count:     47
    .sgpr_spill_count: 0
    .symbol:         _ZN9rocsparseL22bsrxmvn_general_kernelILj1024ELj32E21rocsparse_complex_numIfEllS2_S2_S2_EEv20rocsparse_direction_NS_24const_host_device_scalarIT1_EET3_PKS7_PKT2_SC_S9_PKT4_S7_PKT5_S6_PT6_21rocsparse_index_base_b.kd
    .uniform_work_group_size: 1
    .uses_dynamic_stack: false
    .vgpr_count:     30
    .vgpr_spill_count: 0
    .wavefront_size: 64
  - .agpr_count:     0
    .args:
      - .offset:         0
        .size:           4
        .value_kind:     by_value
      - .offset:         8
        .size:           16
        .value_kind:     by_value
      - .offset:         24
        .size:           8
        .value_kind:     by_value
      - .actual_access:  read_only
        .address_space:  global
        .offset:         32
        .size:           8
        .value_kind:     global_buffer
      - .actual_access:  read_only
        .address_space:  global
        .offset:         40
        .size:           8
        .value_kind:     global_buffer
      - .actual_access:  read_only
        .address_space:  global
        .offset:         48
        .size:           8
        .value_kind:     global_buffer
      - .actual_access:  read_only
        .address_space:  global
        .offset:         56
        .size:           8
        .value_kind:     global_buffer
      - .actual_access:  read_only
        .address_space:  global
        .offset:         64
        .size:           8
        .value_kind:     global_buffer
      - .offset:         72
        .size:           8
        .value_kind:     by_value
      - .actual_access:  read_only
        .address_space:  global
        .offset:         80
        .size:           8
        .value_kind:     global_buffer
      - .offset:         88
        .size:           16
        .value_kind:     by_value
      - .address_space:  global
        .offset:         104
        .size:           8
        .value_kind:     global_buffer
      - .offset:         112
        .size:           4
        .value_kind:     by_value
      - .offset:         116
        .size:           1
        .value_kind:     by_value
    .group_segment_fixed_size: 1024
    .kernarg_segment_align: 8
    .kernarg_segment_size: 120
    .language:       OpenCL C
    .language_version:
      - 2
      - 0
    .max_flat_workgroup_size: 64
    .name:           _ZN9rocsparseL22bsrxmvn_general_kernelILj64ELj8E21rocsparse_complex_numIdEllS2_S2_S2_EEv20rocsparse_direction_NS_24const_host_device_scalarIT1_EET3_PKS7_PKT2_SC_S9_PKT4_S7_PKT5_S6_PT6_21rocsparse_index_base_b
    .private_segment_fixed_size: 0
    .sgpr_count:     46
    .sgpr_spill_count: 0
    .symbol:         _ZN9rocsparseL22bsrxmvn_general_kernelILj64ELj8E21rocsparse_complex_numIdEllS2_S2_S2_EEv20rocsparse_direction_NS_24const_host_device_scalarIT1_EET3_PKS7_PKT2_SC_S9_PKT4_S7_PKT5_S6_PT6_21rocsparse_index_base_b.kd
    .uniform_work_group_size: 1
    .uses_dynamic_stack: false
    .vgpr_count:     36
    .vgpr_spill_count: 0
    .wavefront_size: 64
  - .agpr_count:     0
    .args:
      - .offset:         0
        .size:           4
        .value_kind:     by_value
      - .offset:         8
        .size:           16
        .value_kind:     by_value
      - .offset:         24
        .size:           8
        .value_kind:     by_value
      - .actual_access:  read_only
        .address_space:  global
        .offset:         32
        .size:           8
        .value_kind:     global_buffer
      - .actual_access:  read_only
        .address_space:  global
        .offset:         40
        .size:           8
        .value_kind:     global_buffer
      - .actual_access:  read_only
        .address_space:  global
        .offset:         48
        .size:           8
        .value_kind:     global_buffer
      - .actual_access:  read_only
        .address_space:  global
        .offset:         56
        .size:           8
        .value_kind:     global_buffer
      - .actual_access:  read_only
        .address_space:  global
        .offset:         64
        .size:           8
        .value_kind:     global_buffer
      - .offset:         72
        .size:           8
        .value_kind:     by_value
      - .actual_access:  read_only
        .address_space:  global
        .offset:         80
        .size:           8
        .value_kind:     global_buffer
      - .offset:         88
        .size:           16
        .value_kind:     by_value
      - .address_space:  global
        .offset:         104
        .size:           8
        .value_kind:     global_buffer
      - .offset:         112
        .size:           4
        .value_kind:     by_value
      - .offset:         116
        .size:           1
        .value_kind:     by_value
    .group_segment_fixed_size: 4096
    .kernarg_segment_align: 8
    .kernarg_segment_size: 120
    .language:       OpenCL C
    .language_version:
      - 2
      - 0
    .max_flat_workgroup_size: 256
    .name:           _ZN9rocsparseL22bsrxmvn_general_kernelILj256ELj16E21rocsparse_complex_numIdEllS2_S2_S2_EEv20rocsparse_direction_NS_24const_host_device_scalarIT1_EET3_PKS7_PKT2_SC_S9_PKT4_S7_PKT5_S6_PT6_21rocsparse_index_base_b
    .private_segment_fixed_size: 0
    .sgpr_count:     44
    .sgpr_spill_count: 0
    .symbol:         _ZN9rocsparseL22bsrxmvn_general_kernelILj256ELj16E21rocsparse_complex_numIdEllS2_S2_S2_EEv20rocsparse_direction_NS_24const_host_device_scalarIT1_EET3_PKS7_PKT2_SC_S9_PKT4_S7_PKT5_S6_PT6_21rocsparse_index_base_b.kd
    .uniform_work_group_size: 1
    .uses_dynamic_stack: false
    .vgpr_count:     36
    .vgpr_spill_count: 0
    .wavefront_size: 64
  - .agpr_count:     0
    .args:
      - .offset:         0
        .size:           4
        .value_kind:     by_value
      - .offset:         8
        .size:           16
        .value_kind:     by_value
      - .offset:         24
        .size:           8
        .value_kind:     by_value
      - .actual_access:  read_only
        .address_space:  global
        .offset:         32
        .size:           8
        .value_kind:     global_buffer
      - .actual_access:  read_only
        .address_space:  global
        .offset:         40
        .size:           8
        .value_kind:     global_buffer
      - .actual_access:  read_only
        .address_space:  global
        .offset:         48
        .size:           8
        .value_kind:     global_buffer
      - .actual_access:  read_only
        .address_space:  global
        .offset:         56
        .size:           8
        .value_kind:     global_buffer
      - .actual_access:  read_only
        .address_space:  global
        .offset:         64
        .size:           8
        .value_kind:     global_buffer
      - .offset:         72
        .size:           8
        .value_kind:     by_value
      - .actual_access:  read_only
        .address_space:  global
        .offset:         80
        .size:           8
        .value_kind:     global_buffer
      - .offset:         88
        .size:           16
        .value_kind:     by_value
      - .address_space:  global
        .offset:         104
        .size:           8
        .value_kind:     global_buffer
      - .offset:         112
        .size:           4
        .value_kind:     by_value
      - .offset:         116
        .size:           1
        .value_kind:     by_value
    .group_segment_fixed_size: 16384
    .kernarg_segment_align: 8
    .kernarg_segment_size: 120
    .language:       OpenCL C
    .language_version:
      - 2
      - 0
    .max_flat_workgroup_size: 1024
    .name:           _ZN9rocsparseL22bsrxmvn_general_kernelILj1024ELj32E21rocsparse_complex_numIdEllS2_S2_S2_EEv20rocsparse_direction_NS_24const_host_device_scalarIT1_EET3_PKS7_PKT2_SC_S9_PKT4_S7_PKT5_S6_PT6_21rocsparse_index_base_b
    .private_segment_fixed_size: 0
    .sgpr_count:     46
    .sgpr_spill_count: 0
    .symbol:         _ZN9rocsparseL22bsrxmvn_general_kernelILj1024ELj32E21rocsparse_complex_numIdEllS2_S2_S2_EEv20rocsparse_direction_NS_24const_host_device_scalarIT1_EET3_PKS7_PKT2_SC_S9_PKT4_S7_PKT5_S6_PT6_21rocsparse_index_base_b.kd
    .uniform_work_group_size: 1
    .uses_dynamic_stack: false
    .vgpr_count:     36
    .vgpr_spill_count: 0
    .wavefront_size: 64
  - .agpr_count:     0
    .args:
      - .offset:         0
        .size:           4
        .value_kind:     by_value
      - .offset:         8
        .size:           8
        .value_kind:     by_value
      - .offset:         16
        .size:           4
        .value_kind:     by_value
      - .actual_access:  read_only
        .address_space:  global
        .offset:         24
        .size:           8
        .value_kind:     global_buffer
      - .actual_access:  read_only
        .address_space:  global
        .offset:         32
        .size:           8
        .value_kind:     global_buffer
      - .actual_access:  read_only
        .address_space:  global
        .offset:         40
        .size:           8
        .value_kind:     global_buffer
      - .actual_access:  read_only
        .address_space:  global
        .offset:         48
        .size:           8
        .value_kind:     global_buffer
      - .actual_access:  read_only
        .address_space:  global
        .offset:         56
        .size:           8
        .value_kind:     global_buffer
      - .offset:         64
        .size:           4
        .value_kind:     by_value
      - .actual_access:  read_only
        .address_space:  global
        .offset:         72
        .size:           8
        .value_kind:     global_buffer
      - .offset:         80
        .size:           8
        .value_kind:     by_value
      - .address_space:  global
        .offset:         88
        .size:           8
        .value_kind:     global_buffer
      - .offset:         96
        .size:           4
        .value_kind:     by_value
      - .offset:         100
        .size:           1
        .value_kind:     by_value
    .group_segment_fixed_size: 0
    .kernarg_segment_align: 8
    .kernarg_segment_size: 104
    .language:       OpenCL C
    .language_version:
      - 2
      - 0
    .max_flat_workgroup_size: 64
    .name:           _ZN9rocsparseL22bsrxmvn_general_kernelILj64ELj8EiiiaaiEEv20rocsparse_direction_NS_24const_host_device_scalarIT1_EET3_PKS5_PKT2_SA_S7_PKT4_S5_PKT5_S4_PT6_21rocsparse_index_base_b
    .private_segment_fixed_size: 0
    .sgpr_count:     63
    .sgpr_spill_count: 0
    .symbol:         _ZN9rocsparseL22bsrxmvn_general_kernelILj64ELj8EiiiaaiEEv20rocsparse_direction_NS_24const_host_device_scalarIT1_EET3_PKS5_PKT2_SA_S7_PKT4_S5_PKT5_S4_PT6_21rocsparse_index_base_b.kd
    .uniform_work_group_size: 1
    .uses_dynamic_stack: false
    .vgpr_count:     55
    .vgpr_spill_count: 0
    .wavefront_size: 64
  - .agpr_count:     0
    .args:
      - .offset:         0
        .size:           4
        .value_kind:     by_value
      - .offset:         8
        .size:           8
        .value_kind:     by_value
      - .offset:         16
        .size:           4
        .value_kind:     by_value
      - .actual_access:  read_only
        .address_space:  global
        .offset:         24
        .size:           8
        .value_kind:     global_buffer
      - .actual_access:  read_only
        .address_space:  global
        .offset:         32
        .size:           8
        .value_kind:     global_buffer
      - .actual_access:  read_only
        .address_space:  global
        .offset:         40
        .size:           8
        .value_kind:     global_buffer
      - .actual_access:  read_only
        .address_space:  global
        .offset:         48
        .size:           8
        .value_kind:     global_buffer
      - .actual_access:  read_only
        .address_space:  global
        .offset:         56
        .size:           8
        .value_kind:     global_buffer
      - .offset:         64
        .size:           4
        .value_kind:     by_value
      - .actual_access:  read_only
        .address_space:  global
        .offset:         72
        .size:           8
        .value_kind:     global_buffer
      - .offset:         80
        .size:           8
        .value_kind:     by_value
      - .address_space:  global
        .offset:         88
        .size:           8
        .value_kind:     global_buffer
      - .offset:         96
        .size:           4
        .value_kind:     by_value
      - .offset:         100
        .size:           1
        .value_kind:     by_value
    .group_segment_fixed_size: 0
    .kernarg_segment_align: 8
    .kernarg_segment_size: 104
    .language:       OpenCL C
    .language_version:
      - 2
      - 0
    .max_flat_workgroup_size: 256
    .name:           _ZN9rocsparseL22bsrxmvn_general_kernelILj256ELj16EiiiaaiEEv20rocsparse_direction_NS_24const_host_device_scalarIT1_EET3_PKS5_PKT2_SA_S7_PKT4_S5_PKT5_S4_PT6_21rocsparse_index_base_b
    .private_segment_fixed_size: 0
    .sgpr_count:     63
    .sgpr_spill_count: 0
    .symbol:         _ZN9rocsparseL22bsrxmvn_general_kernelILj256ELj16EiiiaaiEEv20rocsparse_direction_NS_24const_host_device_scalarIT1_EET3_PKS5_PKT2_SA_S7_PKT4_S5_PKT5_S4_PT6_21rocsparse_index_base_b.kd
    .uniform_work_group_size: 1
    .uses_dynamic_stack: false
    .vgpr_count:     55
    .vgpr_spill_count: 0
    .wavefront_size: 64
  - .agpr_count:     0
    .args:
      - .offset:         0
        .size:           4
        .value_kind:     by_value
      - .offset:         8
        .size:           8
        .value_kind:     by_value
      - .offset:         16
        .size:           4
        .value_kind:     by_value
      - .actual_access:  read_only
        .address_space:  global
        .offset:         24
        .size:           8
        .value_kind:     global_buffer
      - .actual_access:  read_only
        .address_space:  global
        .offset:         32
        .size:           8
        .value_kind:     global_buffer
      - .actual_access:  read_only
        .address_space:  global
        .offset:         40
        .size:           8
        .value_kind:     global_buffer
      - .actual_access:  read_only
        .address_space:  global
        .offset:         48
        .size:           8
        .value_kind:     global_buffer
      - .actual_access:  read_only
        .address_space:  global
        .offset:         56
        .size:           8
        .value_kind:     global_buffer
      - .offset:         64
        .size:           4
        .value_kind:     by_value
      - .actual_access:  read_only
        .address_space:  global
        .offset:         72
        .size:           8
        .value_kind:     global_buffer
      - .offset:         80
        .size:           8
        .value_kind:     by_value
      - .address_space:  global
        .offset:         88
        .size:           8
        .value_kind:     global_buffer
      - .offset:         96
        .size:           4
        .value_kind:     by_value
      - .offset:         100
        .size:           1
        .value_kind:     by_value
    .group_segment_fixed_size: 0
    .kernarg_segment_align: 8
    .kernarg_segment_size: 104
    .language:       OpenCL C
    .language_version:
      - 2
      - 0
    .max_flat_workgroup_size: 1024
    .name:           _ZN9rocsparseL22bsrxmvn_general_kernelILj1024ELj32EiiiaaiEEv20rocsparse_direction_NS_24const_host_device_scalarIT1_EET3_PKS5_PKT2_SA_S7_PKT4_S5_PKT5_S4_PT6_21rocsparse_index_base_b
    .private_segment_fixed_size: 0
    .sgpr_count:     63
    .sgpr_spill_count: 0
    .symbol:         _ZN9rocsparseL22bsrxmvn_general_kernelILj1024ELj32EiiiaaiEEv20rocsparse_direction_NS_24const_host_device_scalarIT1_EET3_PKS5_PKT2_SA_S7_PKT4_S5_PKT5_S4_PT6_21rocsparse_index_base_b.kd
    .uniform_work_group_size: 1
    .uses_dynamic_stack: false
    .vgpr_count:     55
    .vgpr_spill_count: 0
    .wavefront_size: 64
  - .agpr_count:     0
    .args:
      - .offset:         0
        .size:           4
        .value_kind:     by_value
      - .offset:         8
        .size:           8
        .value_kind:     by_value
      - .offset:         16
        .size:           4
        .value_kind:     by_value
      - .actual_access:  read_only
        .address_space:  global
        .offset:         24
        .size:           8
        .value_kind:     global_buffer
      - .actual_access:  read_only
        .address_space:  global
        .offset:         32
        .size:           8
        .value_kind:     global_buffer
      - .actual_access:  read_only
        .address_space:  global
        .offset:         40
        .size:           8
        .value_kind:     global_buffer
      - .actual_access:  read_only
        .address_space:  global
        .offset:         48
        .size:           8
        .value_kind:     global_buffer
      - .actual_access:  read_only
        .address_space:  global
        .offset:         56
        .size:           8
        .value_kind:     global_buffer
      - .offset:         64
        .size:           4
        .value_kind:     by_value
      - .actual_access:  read_only
        .address_space:  global
        .offset:         72
        .size:           8
        .value_kind:     global_buffer
      - .offset:         80
        .size:           8
        .value_kind:     by_value
      - .address_space:  global
        .offset:         88
        .size:           8
        .value_kind:     global_buffer
      - .offset:         96
        .size:           4
        .value_kind:     by_value
      - .offset:         100
        .size:           1
        .value_kind:     by_value
    .group_segment_fixed_size: 0
    .kernarg_segment_align: 8
    .kernarg_segment_size: 104
    .language:       OpenCL C
    .language_version:
      - 2
      - 0
    .max_flat_workgroup_size: 64
    .name:           _ZN9rocsparseL22bsrxmvn_general_kernelILj64ELj8EiliaaiEEv20rocsparse_direction_NS_24const_host_device_scalarIT1_EET3_PKS5_PKT2_SA_S7_PKT4_S5_PKT5_S4_PT6_21rocsparse_index_base_b
    .private_segment_fixed_size: 0
    .sgpr_count:     66
    .sgpr_spill_count: 0
    .symbol:         _ZN9rocsparseL22bsrxmvn_general_kernelILj64ELj8EiliaaiEEv20rocsparse_direction_NS_24const_host_device_scalarIT1_EET3_PKS5_PKT2_SA_S7_PKT4_S5_PKT5_S4_PT6_21rocsparse_index_base_b.kd
    .uniform_work_group_size: 1
    .uses_dynamic_stack: false
    .vgpr_count:     55
    .vgpr_spill_count: 0
    .wavefront_size: 64
  - .agpr_count:     0
    .args:
      - .offset:         0
        .size:           4
        .value_kind:     by_value
      - .offset:         8
        .size:           8
        .value_kind:     by_value
      - .offset:         16
        .size:           4
        .value_kind:     by_value
      - .actual_access:  read_only
        .address_space:  global
        .offset:         24
        .size:           8
        .value_kind:     global_buffer
      - .actual_access:  read_only
        .address_space:  global
        .offset:         32
        .size:           8
        .value_kind:     global_buffer
      - .actual_access:  read_only
        .address_space:  global
        .offset:         40
        .size:           8
        .value_kind:     global_buffer
      - .actual_access:  read_only
        .address_space:  global
        .offset:         48
        .size:           8
        .value_kind:     global_buffer
      - .actual_access:  read_only
        .address_space:  global
        .offset:         56
        .size:           8
        .value_kind:     global_buffer
      - .offset:         64
        .size:           4
        .value_kind:     by_value
      - .actual_access:  read_only
        .address_space:  global
        .offset:         72
        .size:           8
        .value_kind:     global_buffer
      - .offset:         80
        .size:           8
        .value_kind:     by_value
      - .address_space:  global
        .offset:         88
        .size:           8
        .value_kind:     global_buffer
      - .offset:         96
        .size:           4
        .value_kind:     by_value
      - .offset:         100
        .size:           1
        .value_kind:     by_value
    .group_segment_fixed_size: 0
    .kernarg_segment_align: 8
    .kernarg_segment_size: 104
    .language:       OpenCL C
    .language_version:
      - 2
      - 0
    .max_flat_workgroup_size: 256
    .name:           _ZN9rocsparseL22bsrxmvn_general_kernelILj256ELj16EiliaaiEEv20rocsparse_direction_NS_24const_host_device_scalarIT1_EET3_PKS5_PKT2_SA_S7_PKT4_S5_PKT5_S4_PT6_21rocsparse_index_base_b
    .private_segment_fixed_size: 0
    .sgpr_count:     66
    .sgpr_spill_count: 0
    .symbol:         _ZN9rocsparseL22bsrxmvn_general_kernelILj256ELj16EiliaaiEEv20rocsparse_direction_NS_24const_host_device_scalarIT1_EET3_PKS5_PKT2_SA_S7_PKT4_S5_PKT5_S4_PT6_21rocsparse_index_base_b.kd
    .uniform_work_group_size: 1
    .uses_dynamic_stack: false
    .vgpr_count:     55
    .vgpr_spill_count: 0
    .wavefront_size: 64
  - .agpr_count:     0
    .args:
      - .offset:         0
        .size:           4
        .value_kind:     by_value
      - .offset:         8
        .size:           8
        .value_kind:     by_value
      - .offset:         16
        .size:           4
        .value_kind:     by_value
      - .actual_access:  read_only
        .address_space:  global
        .offset:         24
        .size:           8
        .value_kind:     global_buffer
      - .actual_access:  read_only
        .address_space:  global
        .offset:         32
        .size:           8
        .value_kind:     global_buffer
      - .actual_access:  read_only
        .address_space:  global
        .offset:         40
        .size:           8
        .value_kind:     global_buffer
      - .actual_access:  read_only
        .address_space:  global
        .offset:         48
        .size:           8
        .value_kind:     global_buffer
      - .actual_access:  read_only
        .address_space:  global
        .offset:         56
        .size:           8
        .value_kind:     global_buffer
      - .offset:         64
        .size:           4
        .value_kind:     by_value
      - .actual_access:  read_only
        .address_space:  global
        .offset:         72
        .size:           8
        .value_kind:     global_buffer
      - .offset:         80
        .size:           8
        .value_kind:     by_value
      - .address_space:  global
        .offset:         88
        .size:           8
        .value_kind:     global_buffer
      - .offset:         96
        .size:           4
        .value_kind:     by_value
      - .offset:         100
        .size:           1
        .value_kind:     by_value
    .group_segment_fixed_size: 0
    .kernarg_segment_align: 8
    .kernarg_segment_size: 104
    .language:       OpenCL C
    .language_version:
      - 2
      - 0
    .max_flat_workgroup_size: 1024
    .name:           _ZN9rocsparseL22bsrxmvn_general_kernelILj1024ELj32EiliaaiEEv20rocsparse_direction_NS_24const_host_device_scalarIT1_EET3_PKS5_PKT2_SA_S7_PKT4_S5_PKT5_S4_PT6_21rocsparse_index_base_b
    .private_segment_fixed_size: 0
    .sgpr_count:     66
    .sgpr_spill_count: 0
    .symbol:         _ZN9rocsparseL22bsrxmvn_general_kernelILj1024ELj32EiliaaiEEv20rocsparse_direction_NS_24const_host_device_scalarIT1_EET3_PKS5_PKT2_SA_S7_PKT4_S5_PKT5_S4_PT6_21rocsparse_index_base_b.kd
    .uniform_work_group_size: 1
    .uses_dynamic_stack: false
    .vgpr_count:     55
    .vgpr_spill_count: 0
    .wavefront_size: 64
  - .agpr_count:     0
    .args:
      - .offset:         0
        .size:           4
        .value_kind:     by_value
      - .offset:         8
        .size:           8
        .value_kind:     by_value
      - .offset:         16
        .size:           8
        .value_kind:     by_value
      - .actual_access:  read_only
        .address_space:  global
        .offset:         24
        .size:           8
        .value_kind:     global_buffer
      - .actual_access:  read_only
        .address_space:  global
        .offset:         32
        .size:           8
        .value_kind:     global_buffer
      - .actual_access:  read_only
        .address_space:  global
        .offset:         40
        .size:           8
        .value_kind:     global_buffer
      - .actual_access:  read_only
        .address_space:  global
        .offset:         48
        .size:           8
        .value_kind:     global_buffer
      - .actual_access:  read_only
        .address_space:  global
        .offset:         56
        .size:           8
        .value_kind:     global_buffer
      - .offset:         64
        .size:           8
        .value_kind:     by_value
      - .actual_access:  read_only
        .address_space:  global
        .offset:         72
        .size:           8
        .value_kind:     global_buffer
      - .offset:         80
        .size:           8
        .value_kind:     by_value
      - .address_space:  global
        .offset:         88
        .size:           8
        .value_kind:     global_buffer
      - .offset:         96
        .size:           4
        .value_kind:     by_value
      - .offset:         100
        .size:           1
        .value_kind:     by_value
    .group_segment_fixed_size: 0
    .kernarg_segment_align: 8
    .kernarg_segment_size: 104
    .language:       OpenCL C
    .language_version:
      - 2
      - 0
    .max_flat_workgroup_size: 64
    .name:           _ZN9rocsparseL22bsrxmvn_general_kernelILj64ELj8EillaaiEEv20rocsparse_direction_NS_24const_host_device_scalarIT1_EET3_PKS5_PKT2_SA_S7_PKT4_S5_PKT5_S4_PT6_21rocsparse_index_base_b
    .private_segment_fixed_size: 0
    .sgpr_count:     66
    .sgpr_spill_count: 0
    .symbol:         _ZN9rocsparseL22bsrxmvn_general_kernelILj64ELj8EillaaiEEv20rocsparse_direction_NS_24const_host_device_scalarIT1_EET3_PKS5_PKT2_SA_S7_PKT4_S5_PKT5_S4_PT6_21rocsparse_index_base_b.kd
    .uniform_work_group_size: 1
    .uses_dynamic_stack: false
    .vgpr_count:     66
    .vgpr_spill_count: 0
    .wavefront_size: 64
  - .agpr_count:     0
    .args:
      - .offset:         0
        .size:           4
        .value_kind:     by_value
      - .offset:         8
        .size:           8
        .value_kind:     by_value
      - .offset:         16
        .size:           8
        .value_kind:     by_value
      - .actual_access:  read_only
        .address_space:  global
        .offset:         24
        .size:           8
        .value_kind:     global_buffer
      - .actual_access:  read_only
        .address_space:  global
        .offset:         32
        .size:           8
        .value_kind:     global_buffer
      - .actual_access:  read_only
        .address_space:  global
        .offset:         40
        .size:           8
        .value_kind:     global_buffer
      - .actual_access:  read_only
        .address_space:  global
        .offset:         48
        .size:           8
        .value_kind:     global_buffer
      - .actual_access:  read_only
        .address_space:  global
        .offset:         56
        .size:           8
        .value_kind:     global_buffer
      - .offset:         64
        .size:           8
        .value_kind:     by_value
      - .actual_access:  read_only
        .address_space:  global
        .offset:         72
        .size:           8
        .value_kind:     global_buffer
      - .offset:         80
        .size:           8
        .value_kind:     by_value
      - .address_space:  global
        .offset:         88
        .size:           8
        .value_kind:     global_buffer
      - .offset:         96
        .size:           4
        .value_kind:     by_value
      - .offset:         100
        .size:           1
        .value_kind:     by_value
    .group_segment_fixed_size: 0
    .kernarg_segment_align: 8
    .kernarg_segment_size: 104
    .language:       OpenCL C
    .language_version:
      - 2
      - 0
    .max_flat_workgroup_size: 256
    .name:           _ZN9rocsparseL22bsrxmvn_general_kernelILj256ELj16EillaaiEEv20rocsparse_direction_NS_24const_host_device_scalarIT1_EET3_PKS5_PKT2_SA_S7_PKT4_S5_PKT5_S4_PT6_21rocsparse_index_base_b
    .private_segment_fixed_size: 0
    .sgpr_count:     66
    .sgpr_spill_count: 0
    .symbol:         _ZN9rocsparseL22bsrxmvn_general_kernelILj256ELj16EillaaiEEv20rocsparse_direction_NS_24const_host_device_scalarIT1_EET3_PKS5_PKT2_SA_S7_PKT4_S5_PKT5_S4_PT6_21rocsparse_index_base_b.kd
    .uniform_work_group_size: 1
    .uses_dynamic_stack: false
    .vgpr_count:     66
    .vgpr_spill_count: 0
    .wavefront_size: 64
  - .agpr_count:     0
    .args:
      - .offset:         0
        .size:           4
        .value_kind:     by_value
      - .offset:         8
        .size:           8
        .value_kind:     by_value
      - .offset:         16
        .size:           8
        .value_kind:     by_value
      - .actual_access:  read_only
        .address_space:  global
        .offset:         24
        .size:           8
        .value_kind:     global_buffer
      - .actual_access:  read_only
        .address_space:  global
        .offset:         32
        .size:           8
        .value_kind:     global_buffer
      - .actual_access:  read_only
        .address_space:  global
        .offset:         40
        .size:           8
        .value_kind:     global_buffer
      - .actual_access:  read_only
        .address_space:  global
        .offset:         48
        .size:           8
        .value_kind:     global_buffer
      - .actual_access:  read_only
        .address_space:  global
        .offset:         56
        .size:           8
        .value_kind:     global_buffer
      - .offset:         64
        .size:           8
        .value_kind:     by_value
      - .actual_access:  read_only
        .address_space:  global
        .offset:         72
        .size:           8
        .value_kind:     global_buffer
      - .offset:         80
        .size:           8
        .value_kind:     by_value
      - .address_space:  global
        .offset:         88
        .size:           8
        .value_kind:     global_buffer
      - .offset:         96
        .size:           4
        .value_kind:     by_value
      - .offset:         100
        .size:           1
        .value_kind:     by_value
    .group_segment_fixed_size: 0
    .kernarg_segment_align: 8
    .kernarg_segment_size: 104
    .language:       OpenCL C
    .language_version:
      - 2
      - 0
    .max_flat_workgroup_size: 1024
    .name:           _ZN9rocsparseL22bsrxmvn_general_kernelILj1024ELj32EillaaiEEv20rocsparse_direction_NS_24const_host_device_scalarIT1_EET3_PKS5_PKT2_SA_S7_PKT4_S5_PKT5_S4_PT6_21rocsparse_index_base_b
    .private_segment_fixed_size: 0
    .sgpr_count:     67
    .sgpr_spill_count: 0
    .symbol:         _ZN9rocsparseL22bsrxmvn_general_kernelILj1024ELj32EillaaiEEv20rocsparse_direction_NS_24const_host_device_scalarIT1_EET3_PKS5_PKT2_SA_S7_PKT4_S5_PKT5_S4_PT6_21rocsparse_index_base_b.kd
    .uniform_work_group_size: 1
    .uses_dynamic_stack: false
    .vgpr_count:     66
    .vgpr_spill_count: 0
    .wavefront_size: 64
  - .agpr_count:     0
    .args:
      - .offset:         0
        .size:           4
        .value_kind:     by_value
      - .offset:         8
        .size:           8
        .value_kind:     by_value
      - .offset:         16
        .size:           4
        .value_kind:     by_value
      - .actual_access:  read_only
        .address_space:  global
        .offset:         24
        .size:           8
        .value_kind:     global_buffer
      - .actual_access:  read_only
        .address_space:  global
        .offset:         32
        .size:           8
        .value_kind:     global_buffer
      - .actual_access:  read_only
        .address_space:  global
        .offset:         40
        .size:           8
        .value_kind:     global_buffer
      - .actual_access:  read_only
        .address_space:  global
        .offset:         48
        .size:           8
        .value_kind:     global_buffer
      - .actual_access:  read_only
        .address_space:  global
        .offset:         56
        .size:           8
        .value_kind:     global_buffer
      - .offset:         64
        .size:           4
        .value_kind:     by_value
      - .actual_access:  read_only
        .address_space:  global
        .offset:         72
        .size:           8
        .value_kind:     global_buffer
      - .offset:         80
        .size:           8
        .value_kind:     by_value
      - .address_space:  global
        .offset:         88
        .size:           8
        .value_kind:     global_buffer
      - .offset:         96
        .size:           4
        .value_kind:     by_value
      - .offset:         100
        .size:           1
        .value_kind:     by_value
    .group_segment_fixed_size: 0
    .kernarg_segment_align: 8
    .kernarg_segment_size: 104
    .language:       OpenCL C
    .language_version:
      - 2
      - 0
    .max_flat_workgroup_size: 64
    .name:           _ZN9rocsparseL22bsrxmvn_general_kernelILj64ELj8EfiiaafEEv20rocsparse_direction_NS_24const_host_device_scalarIT1_EET3_PKS5_PKT2_SA_S7_PKT4_S5_PKT5_S4_PT6_21rocsparse_index_base_b
    .private_segment_fixed_size: 0
    .sgpr_count:     45
    .sgpr_spill_count: 0
    .symbol:         _ZN9rocsparseL22bsrxmvn_general_kernelILj64ELj8EfiiaafEEv20rocsparse_direction_NS_24const_host_device_scalarIT1_EET3_PKS5_PKT2_SA_S7_PKT4_S5_PKT5_S4_PT6_21rocsparse_index_base_b.kd
    .uniform_work_group_size: 1
    .uses_dynamic_stack: false
    .vgpr_count:     18
    .vgpr_spill_count: 0
    .wavefront_size: 64
  - .agpr_count:     0
    .args:
      - .offset:         0
        .size:           4
        .value_kind:     by_value
      - .offset:         8
        .size:           8
        .value_kind:     by_value
      - .offset:         16
        .size:           4
        .value_kind:     by_value
      - .actual_access:  read_only
        .address_space:  global
        .offset:         24
        .size:           8
        .value_kind:     global_buffer
      - .actual_access:  read_only
        .address_space:  global
        .offset:         32
        .size:           8
        .value_kind:     global_buffer
      - .actual_access:  read_only
        .address_space:  global
        .offset:         40
        .size:           8
        .value_kind:     global_buffer
      - .actual_access:  read_only
        .address_space:  global
        .offset:         48
        .size:           8
        .value_kind:     global_buffer
      - .actual_access:  read_only
        .address_space:  global
        .offset:         56
        .size:           8
        .value_kind:     global_buffer
      - .offset:         64
        .size:           4
        .value_kind:     by_value
      - .actual_access:  read_only
        .address_space:  global
        .offset:         72
        .size:           8
        .value_kind:     global_buffer
      - .offset:         80
        .size:           8
        .value_kind:     by_value
      - .address_space:  global
        .offset:         88
        .size:           8
        .value_kind:     global_buffer
      - .offset:         96
        .size:           4
        .value_kind:     by_value
      - .offset:         100
        .size:           1
        .value_kind:     by_value
    .group_segment_fixed_size: 0
    .kernarg_segment_align: 8
    .kernarg_segment_size: 104
    .language:       OpenCL C
    .language_version:
      - 2
      - 0
    .max_flat_workgroup_size: 256
    .name:           _ZN9rocsparseL22bsrxmvn_general_kernelILj256ELj16EfiiaafEEv20rocsparse_direction_NS_24const_host_device_scalarIT1_EET3_PKS5_PKT2_SA_S7_PKT4_S5_PKT5_S4_PT6_21rocsparse_index_base_b
    .private_segment_fixed_size: 0
    .sgpr_count:     45
    .sgpr_spill_count: 0
    .symbol:         _ZN9rocsparseL22bsrxmvn_general_kernelILj256ELj16EfiiaafEEv20rocsparse_direction_NS_24const_host_device_scalarIT1_EET3_PKS5_PKT2_SA_S7_PKT4_S5_PKT5_S4_PT6_21rocsparse_index_base_b.kd
    .uniform_work_group_size: 1
    .uses_dynamic_stack: false
    .vgpr_count:     18
    .vgpr_spill_count: 0
    .wavefront_size: 64
  - .agpr_count:     0
    .args:
      - .offset:         0
        .size:           4
        .value_kind:     by_value
      - .offset:         8
        .size:           8
        .value_kind:     by_value
      - .offset:         16
        .size:           4
        .value_kind:     by_value
      - .actual_access:  read_only
        .address_space:  global
        .offset:         24
        .size:           8
        .value_kind:     global_buffer
      - .actual_access:  read_only
        .address_space:  global
        .offset:         32
        .size:           8
        .value_kind:     global_buffer
      - .actual_access:  read_only
        .address_space:  global
        .offset:         40
        .size:           8
        .value_kind:     global_buffer
      - .actual_access:  read_only
        .address_space:  global
        .offset:         48
        .size:           8
        .value_kind:     global_buffer
      - .actual_access:  read_only
        .address_space:  global
        .offset:         56
        .size:           8
        .value_kind:     global_buffer
      - .offset:         64
        .size:           4
        .value_kind:     by_value
      - .actual_access:  read_only
        .address_space:  global
        .offset:         72
        .size:           8
        .value_kind:     global_buffer
      - .offset:         80
        .size:           8
        .value_kind:     by_value
      - .address_space:  global
        .offset:         88
        .size:           8
        .value_kind:     global_buffer
      - .offset:         96
        .size:           4
        .value_kind:     by_value
      - .offset:         100
        .size:           1
        .value_kind:     by_value
    .group_segment_fixed_size: 0
    .kernarg_segment_align: 8
    .kernarg_segment_size: 104
    .language:       OpenCL C
    .language_version:
      - 2
      - 0
    .max_flat_workgroup_size: 1024
    .name:           _ZN9rocsparseL22bsrxmvn_general_kernelILj1024ELj32EfiiaafEEv20rocsparse_direction_NS_24const_host_device_scalarIT1_EET3_PKS5_PKT2_SA_S7_PKT4_S5_PKT5_S4_PT6_21rocsparse_index_base_b
    .private_segment_fixed_size: 0
    .sgpr_count:     45
    .sgpr_spill_count: 0
    .symbol:         _ZN9rocsparseL22bsrxmvn_general_kernelILj1024ELj32EfiiaafEEv20rocsparse_direction_NS_24const_host_device_scalarIT1_EET3_PKS5_PKT2_SA_S7_PKT4_S5_PKT5_S4_PT6_21rocsparse_index_base_b.kd
    .uniform_work_group_size: 1
    .uses_dynamic_stack: false
    .vgpr_count:     18
    .vgpr_spill_count: 0
    .wavefront_size: 64
  - .agpr_count:     0
    .args:
      - .offset:         0
        .size:           4
        .value_kind:     by_value
      - .offset:         8
        .size:           8
        .value_kind:     by_value
      - .offset:         16
        .size:           4
        .value_kind:     by_value
      - .actual_access:  read_only
        .address_space:  global
        .offset:         24
        .size:           8
        .value_kind:     global_buffer
      - .actual_access:  read_only
        .address_space:  global
        .offset:         32
        .size:           8
        .value_kind:     global_buffer
      - .actual_access:  read_only
        .address_space:  global
        .offset:         40
        .size:           8
        .value_kind:     global_buffer
      - .actual_access:  read_only
        .address_space:  global
        .offset:         48
        .size:           8
        .value_kind:     global_buffer
      - .actual_access:  read_only
        .address_space:  global
        .offset:         56
        .size:           8
        .value_kind:     global_buffer
      - .offset:         64
        .size:           4
        .value_kind:     by_value
      - .actual_access:  read_only
        .address_space:  global
        .offset:         72
        .size:           8
        .value_kind:     global_buffer
      - .offset:         80
        .size:           8
        .value_kind:     by_value
      - .address_space:  global
        .offset:         88
        .size:           8
        .value_kind:     global_buffer
      - .offset:         96
        .size:           4
        .value_kind:     by_value
      - .offset:         100
        .size:           1
        .value_kind:     by_value
    .group_segment_fixed_size: 0
    .kernarg_segment_align: 8
    .kernarg_segment_size: 104
    .language:       OpenCL C
    .language_version:
      - 2
      - 0
    .max_flat_workgroup_size: 64
    .name:           _ZN9rocsparseL22bsrxmvn_general_kernelILj64ELj8EfliaafEEv20rocsparse_direction_NS_24const_host_device_scalarIT1_EET3_PKS5_PKT2_SA_S7_PKT4_S5_PKT5_S4_PT6_21rocsparse_index_base_b
    .private_segment_fixed_size: 0
    .sgpr_count:     48
    .sgpr_spill_count: 0
    .symbol:         _ZN9rocsparseL22bsrxmvn_general_kernelILj64ELj8EfliaafEEv20rocsparse_direction_NS_24const_host_device_scalarIT1_EET3_PKS5_PKT2_SA_S7_PKT4_S5_PKT5_S4_PT6_21rocsparse_index_base_b.kd
    .uniform_work_group_size: 1
    .uses_dynamic_stack: false
    .vgpr_count:     18
    .vgpr_spill_count: 0
    .wavefront_size: 64
  - .agpr_count:     0
    .args:
      - .offset:         0
        .size:           4
        .value_kind:     by_value
      - .offset:         8
        .size:           8
        .value_kind:     by_value
      - .offset:         16
        .size:           4
        .value_kind:     by_value
      - .actual_access:  read_only
        .address_space:  global
        .offset:         24
        .size:           8
        .value_kind:     global_buffer
      - .actual_access:  read_only
        .address_space:  global
        .offset:         32
        .size:           8
        .value_kind:     global_buffer
      - .actual_access:  read_only
        .address_space:  global
        .offset:         40
        .size:           8
        .value_kind:     global_buffer
      - .actual_access:  read_only
        .address_space:  global
        .offset:         48
        .size:           8
        .value_kind:     global_buffer
      - .actual_access:  read_only
        .address_space:  global
        .offset:         56
        .size:           8
        .value_kind:     global_buffer
      - .offset:         64
        .size:           4
        .value_kind:     by_value
      - .actual_access:  read_only
        .address_space:  global
        .offset:         72
        .size:           8
        .value_kind:     global_buffer
      - .offset:         80
        .size:           8
        .value_kind:     by_value
      - .address_space:  global
        .offset:         88
        .size:           8
        .value_kind:     global_buffer
      - .offset:         96
        .size:           4
        .value_kind:     by_value
      - .offset:         100
        .size:           1
        .value_kind:     by_value
    .group_segment_fixed_size: 0
    .kernarg_segment_align: 8
    .kernarg_segment_size: 104
    .language:       OpenCL C
    .language_version:
      - 2
      - 0
    .max_flat_workgroup_size: 256
    .name:           _ZN9rocsparseL22bsrxmvn_general_kernelILj256ELj16EfliaafEEv20rocsparse_direction_NS_24const_host_device_scalarIT1_EET3_PKS5_PKT2_SA_S7_PKT4_S5_PKT5_S4_PT6_21rocsparse_index_base_b
    .private_segment_fixed_size: 0
    .sgpr_count:     48
    .sgpr_spill_count: 0
    .symbol:         _ZN9rocsparseL22bsrxmvn_general_kernelILj256ELj16EfliaafEEv20rocsparse_direction_NS_24const_host_device_scalarIT1_EET3_PKS5_PKT2_SA_S7_PKT4_S5_PKT5_S4_PT6_21rocsparse_index_base_b.kd
    .uniform_work_group_size: 1
    .uses_dynamic_stack: false
    .vgpr_count:     18
    .vgpr_spill_count: 0
    .wavefront_size: 64
  - .agpr_count:     0
    .args:
      - .offset:         0
        .size:           4
        .value_kind:     by_value
      - .offset:         8
        .size:           8
        .value_kind:     by_value
      - .offset:         16
        .size:           4
        .value_kind:     by_value
      - .actual_access:  read_only
        .address_space:  global
        .offset:         24
        .size:           8
        .value_kind:     global_buffer
      - .actual_access:  read_only
        .address_space:  global
        .offset:         32
        .size:           8
        .value_kind:     global_buffer
      - .actual_access:  read_only
        .address_space:  global
        .offset:         40
        .size:           8
        .value_kind:     global_buffer
      - .actual_access:  read_only
        .address_space:  global
        .offset:         48
        .size:           8
        .value_kind:     global_buffer
      - .actual_access:  read_only
        .address_space:  global
        .offset:         56
        .size:           8
        .value_kind:     global_buffer
      - .offset:         64
        .size:           4
        .value_kind:     by_value
      - .actual_access:  read_only
        .address_space:  global
        .offset:         72
        .size:           8
        .value_kind:     global_buffer
      - .offset:         80
        .size:           8
        .value_kind:     by_value
      - .address_space:  global
        .offset:         88
        .size:           8
        .value_kind:     global_buffer
      - .offset:         96
        .size:           4
        .value_kind:     by_value
      - .offset:         100
        .size:           1
        .value_kind:     by_value
    .group_segment_fixed_size: 0
    .kernarg_segment_align: 8
    .kernarg_segment_size: 104
    .language:       OpenCL C
    .language_version:
      - 2
      - 0
    .max_flat_workgroup_size: 1024
    .name:           _ZN9rocsparseL22bsrxmvn_general_kernelILj1024ELj32EfliaafEEv20rocsparse_direction_NS_24const_host_device_scalarIT1_EET3_PKS5_PKT2_SA_S7_PKT4_S5_PKT5_S4_PT6_21rocsparse_index_base_b
    .private_segment_fixed_size: 0
    .sgpr_count:     48
    .sgpr_spill_count: 0
    .symbol:         _ZN9rocsparseL22bsrxmvn_general_kernelILj1024ELj32EfliaafEEv20rocsparse_direction_NS_24const_host_device_scalarIT1_EET3_PKS5_PKT2_SA_S7_PKT4_S5_PKT5_S4_PT6_21rocsparse_index_base_b.kd
    .uniform_work_group_size: 1
    .uses_dynamic_stack: false
    .vgpr_count:     18
    .vgpr_spill_count: 0
    .wavefront_size: 64
  - .agpr_count:     0
    .args:
      - .offset:         0
        .size:           4
        .value_kind:     by_value
      - .offset:         8
        .size:           8
        .value_kind:     by_value
      - .offset:         16
        .size:           8
        .value_kind:     by_value
      - .actual_access:  read_only
        .address_space:  global
        .offset:         24
        .size:           8
        .value_kind:     global_buffer
      - .actual_access:  read_only
        .address_space:  global
        .offset:         32
        .size:           8
        .value_kind:     global_buffer
      - .actual_access:  read_only
        .address_space:  global
        .offset:         40
        .size:           8
        .value_kind:     global_buffer
      - .actual_access:  read_only
        .address_space:  global
        .offset:         48
        .size:           8
        .value_kind:     global_buffer
      - .actual_access:  read_only
        .address_space:  global
        .offset:         56
        .size:           8
        .value_kind:     global_buffer
      - .offset:         64
        .size:           8
        .value_kind:     by_value
      - .actual_access:  read_only
        .address_space:  global
        .offset:         72
        .size:           8
        .value_kind:     global_buffer
      - .offset:         80
        .size:           8
        .value_kind:     by_value
      - .address_space:  global
        .offset:         88
        .size:           8
        .value_kind:     global_buffer
      - .offset:         96
        .size:           4
        .value_kind:     by_value
      - .offset:         100
        .size:           1
        .value_kind:     by_value
    .group_segment_fixed_size: 0
    .kernarg_segment_align: 8
    .kernarg_segment_size: 104
    .language:       OpenCL C
    .language_version:
      - 2
      - 0
    .max_flat_workgroup_size: 64
    .name:           _ZN9rocsparseL22bsrxmvn_general_kernelILj64ELj8EfllaafEEv20rocsparse_direction_NS_24const_host_device_scalarIT1_EET3_PKS5_PKT2_SA_S7_PKT4_S5_PKT5_S4_PT6_21rocsparse_index_base_b
    .private_segment_fixed_size: 0
    .sgpr_count:     50
    .sgpr_spill_count: 0
    .symbol:         _ZN9rocsparseL22bsrxmvn_general_kernelILj64ELj8EfllaafEEv20rocsparse_direction_NS_24const_host_device_scalarIT1_EET3_PKS5_PKT2_SA_S7_PKT4_S5_PKT5_S4_PT6_21rocsparse_index_base_b.kd
    .uniform_work_group_size: 1
    .uses_dynamic_stack: false
    .vgpr_count:     15
    .vgpr_spill_count: 0
    .wavefront_size: 64
  - .agpr_count:     0
    .args:
      - .offset:         0
        .size:           4
        .value_kind:     by_value
      - .offset:         8
        .size:           8
        .value_kind:     by_value
      - .offset:         16
        .size:           8
        .value_kind:     by_value
      - .actual_access:  read_only
        .address_space:  global
        .offset:         24
        .size:           8
        .value_kind:     global_buffer
      - .actual_access:  read_only
        .address_space:  global
        .offset:         32
        .size:           8
        .value_kind:     global_buffer
      - .actual_access:  read_only
        .address_space:  global
        .offset:         40
        .size:           8
        .value_kind:     global_buffer
      - .actual_access:  read_only
        .address_space:  global
        .offset:         48
        .size:           8
        .value_kind:     global_buffer
      - .actual_access:  read_only
        .address_space:  global
        .offset:         56
        .size:           8
        .value_kind:     global_buffer
      - .offset:         64
        .size:           8
        .value_kind:     by_value
      - .actual_access:  read_only
        .address_space:  global
        .offset:         72
        .size:           8
        .value_kind:     global_buffer
      - .offset:         80
        .size:           8
        .value_kind:     by_value
      - .address_space:  global
        .offset:         88
        .size:           8
        .value_kind:     global_buffer
      - .offset:         96
        .size:           4
        .value_kind:     by_value
      - .offset:         100
        .size:           1
        .value_kind:     by_value
    .group_segment_fixed_size: 0
    .kernarg_segment_align: 8
    .kernarg_segment_size: 104
    .language:       OpenCL C
    .language_version:
      - 2
      - 0
    .max_flat_workgroup_size: 256
    .name:           _ZN9rocsparseL22bsrxmvn_general_kernelILj256ELj16EfllaafEEv20rocsparse_direction_NS_24const_host_device_scalarIT1_EET3_PKS5_PKT2_SA_S7_PKT4_S5_PKT5_S4_PT6_21rocsparse_index_base_b
    .private_segment_fixed_size: 0
    .sgpr_count:     50
    .sgpr_spill_count: 0
    .symbol:         _ZN9rocsparseL22bsrxmvn_general_kernelILj256ELj16EfllaafEEv20rocsparse_direction_NS_24const_host_device_scalarIT1_EET3_PKS5_PKT2_SA_S7_PKT4_S5_PKT5_S4_PT6_21rocsparse_index_base_b.kd
    .uniform_work_group_size: 1
    .uses_dynamic_stack: false
    .vgpr_count:     15
    .vgpr_spill_count: 0
    .wavefront_size: 64
  - .agpr_count:     0
    .args:
      - .offset:         0
        .size:           4
        .value_kind:     by_value
      - .offset:         8
        .size:           8
        .value_kind:     by_value
      - .offset:         16
        .size:           8
        .value_kind:     by_value
      - .actual_access:  read_only
        .address_space:  global
        .offset:         24
        .size:           8
        .value_kind:     global_buffer
      - .actual_access:  read_only
        .address_space:  global
        .offset:         32
        .size:           8
        .value_kind:     global_buffer
      - .actual_access:  read_only
        .address_space:  global
        .offset:         40
        .size:           8
        .value_kind:     global_buffer
      - .actual_access:  read_only
        .address_space:  global
        .offset:         48
        .size:           8
        .value_kind:     global_buffer
      - .actual_access:  read_only
        .address_space:  global
        .offset:         56
        .size:           8
        .value_kind:     global_buffer
      - .offset:         64
        .size:           8
        .value_kind:     by_value
      - .actual_access:  read_only
        .address_space:  global
        .offset:         72
        .size:           8
        .value_kind:     global_buffer
      - .offset:         80
        .size:           8
        .value_kind:     by_value
      - .address_space:  global
        .offset:         88
        .size:           8
        .value_kind:     global_buffer
      - .offset:         96
        .size:           4
        .value_kind:     by_value
      - .offset:         100
        .size:           1
        .value_kind:     by_value
    .group_segment_fixed_size: 0
    .kernarg_segment_align: 8
    .kernarg_segment_size: 104
    .language:       OpenCL C
    .language_version:
      - 2
      - 0
    .max_flat_workgroup_size: 1024
    .name:           _ZN9rocsparseL22bsrxmvn_general_kernelILj1024ELj32EfllaafEEv20rocsparse_direction_NS_24const_host_device_scalarIT1_EET3_PKS5_PKT2_SA_S7_PKT4_S5_PKT5_S4_PT6_21rocsparse_index_base_b
    .private_segment_fixed_size: 0
    .sgpr_count:     50
    .sgpr_spill_count: 0
    .symbol:         _ZN9rocsparseL22bsrxmvn_general_kernelILj1024ELj32EfllaafEEv20rocsparse_direction_NS_24const_host_device_scalarIT1_EET3_PKS5_PKT2_SA_S7_PKT4_S5_PKT5_S4_PT6_21rocsparse_index_base_b.kd
    .uniform_work_group_size: 1
    .uses_dynamic_stack: false
    .vgpr_count:     15
    .vgpr_spill_count: 0
    .wavefront_size: 64
  - .agpr_count:     0
    .args:
      - .offset:         0
        .size:           4
        .value_kind:     by_value
      - .offset:         8
        .size:           8
        .value_kind:     by_value
      - .offset:         16
        .size:           4
        .value_kind:     by_value
      - .actual_access:  read_only
        .address_space:  global
        .offset:         24
        .size:           8
        .value_kind:     global_buffer
      - .actual_access:  read_only
        .address_space:  global
        .offset:         32
        .size:           8
        .value_kind:     global_buffer
      - .actual_access:  read_only
        .address_space:  global
        .offset:         40
        .size:           8
        .value_kind:     global_buffer
      - .actual_access:  read_only
        .address_space:  global
        .offset:         48
        .size:           8
        .value_kind:     global_buffer
      - .actual_access:  read_only
        .address_space:  global
        .offset:         56
        .size:           8
        .value_kind:     global_buffer
      - .offset:         64
        .size:           4
        .value_kind:     by_value
      - .actual_access:  read_only
        .address_space:  global
        .offset:         72
        .size:           8
        .value_kind:     global_buffer
      - .offset:         80
        .size:           8
        .value_kind:     by_value
      - .address_space:  global
        .offset:         88
        .size:           8
        .value_kind:     global_buffer
      - .offset:         96
        .size:           4
        .value_kind:     by_value
      - .offset:         100
        .size:           1
        .value_kind:     by_value
    .group_segment_fixed_size: 0
    .kernarg_segment_align: 8
    .kernarg_segment_size: 104
    .language:       OpenCL C
    .language_version:
      - 2
      - 0
    .max_flat_workgroup_size: 64
    .name:           _ZN9rocsparseL22bsrxmvn_general_kernelILj64ELj8EfiiDF16_DF16_fEEv20rocsparse_direction_NS_24const_host_device_scalarIT1_EET3_PKS5_PKT2_SA_S7_PKT4_S5_PKT5_S4_PT6_21rocsparse_index_base_b
    .private_segment_fixed_size: 0
    .sgpr_count:     45
    .sgpr_spill_count: 0
    .symbol:         _ZN9rocsparseL22bsrxmvn_general_kernelILj64ELj8EfiiDF16_DF16_fEEv20rocsparse_direction_NS_24const_host_device_scalarIT1_EET3_PKS5_PKT2_SA_S7_PKT4_S5_PKT5_S4_PT6_21rocsparse_index_base_b.kd
    .uniform_work_group_size: 1
    .uses_dynamic_stack: false
    .vgpr_count:     18
    .vgpr_spill_count: 0
    .wavefront_size: 64
  - .agpr_count:     0
    .args:
      - .offset:         0
        .size:           4
        .value_kind:     by_value
      - .offset:         8
        .size:           8
        .value_kind:     by_value
      - .offset:         16
        .size:           4
        .value_kind:     by_value
      - .actual_access:  read_only
        .address_space:  global
        .offset:         24
        .size:           8
        .value_kind:     global_buffer
      - .actual_access:  read_only
        .address_space:  global
        .offset:         32
        .size:           8
        .value_kind:     global_buffer
      - .actual_access:  read_only
        .address_space:  global
        .offset:         40
        .size:           8
        .value_kind:     global_buffer
      - .actual_access:  read_only
        .address_space:  global
        .offset:         48
        .size:           8
        .value_kind:     global_buffer
      - .actual_access:  read_only
        .address_space:  global
        .offset:         56
        .size:           8
        .value_kind:     global_buffer
      - .offset:         64
        .size:           4
        .value_kind:     by_value
      - .actual_access:  read_only
        .address_space:  global
        .offset:         72
        .size:           8
        .value_kind:     global_buffer
      - .offset:         80
        .size:           8
        .value_kind:     by_value
      - .address_space:  global
        .offset:         88
        .size:           8
        .value_kind:     global_buffer
      - .offset:         96
        .size:           4
        .value_kind:     by_value
      - .offset:         100
        .size:           1
        .value_kind:     by_value
    .group_segment_fixed_size: 0
    .kernarg_segment_align: 8
    .kernarg_segment_size: 104
    .language:       OpenCL C
    .language_version:
      - 2
      - 0
    .max_flat_workgroup_size: 256
    .name:           _ZN9rocsparseL22bsrxmvn_general_kernelILj256ELj16EfiiDF16_DF16_fEEv20rocsparse_direction_NS_24const_host_device_scalarIT1_EET3_PKS5_PKT2_SA_S7_PKT4_S5_PKT5_S4_PT6_21rocsparse_index_base_b
    .private_segment_fixed_size: 0
    .sgpr_count:     45
    .sgpr_spill_count: 0
    .symbol:         _ZN9rocsparseL22bsrxmvn_general_kernelILj256ELj16EfiiDF16_DF16_fEEv20rocsparse_direction_NS_24const_host_device_scalarIT1_EET3_PKS5_PKT2_SA_S7_PKT4_S5_PKT5_S4_PT6_21rocsparse_index_base_b.kd
    .uniform_work_group_size: 1
    .uses_dynamic_stack: false
    .vgpr_count:     18
    .vgpr_spill_count: 0
    .wavefront_size: 64
  - .agpr_count:     0
    .args:
      - .offset:         0
        .size:           4
        .value_kind:     by_value
      - .offset:         8
        .size:           8
        .value_kind:     by_value
      - .offset:         16
        .size:           4
        .value_kind:     by_value
      - .actual_access:  read_only
        .address_space:  global
        .offset:         24
        .size:           8
        .value_kind:     global_buffer
      - .actual_access:  read_only
        .address_space:  global
        .offset:         32
        .size:           8
        .value_kind:     global_buffer
      - .actual_access:  read_only
        .address_space:  global
        .offset:         40
        .size:           8
        .value_kind:     global_buffer
      - .actual_access:  read_only
        .address_space:  global
        .offset:         48
        .size:           8
        .value_kind:     global_buffer
      - .actual_access:  read_only
        .address_space:  global
        .offset:         56
        .size:           8
        .value_kind:     global_buffer
      - .offset:         64
        .size:           4
        .value_kind:     by_value
      - .actual_access:  read_only
        .address_space:  global
        .offset:         72
        .size:           8
        .value_kind:     global_buffer
      - .offset:         80
        .size:           8
        .value_kind:     by_value
      - .address_space:  global
        .offset:         88
        .size:           8
        .value_kind:     global_buffer
      - .offset:         96
        .size:           4
        .value_kind:     by_value
      - .offset:         100
        .size:           1
        .value_kind:     by_value
    .group_segment_fixed_size: 0
    .kernarg_segment_align: 8
    .kernarg_segment_size: 104
    .language:       OpenCL C
    .language_version:
      - 2
      - 0
    .max_flat_workgroup_size: 1024
    .name:           _ZN9rocsparseL22bsrxmvn_general_kernelILj1024ELj32EfiiDF16_DF16_fEEv20rocsparse_direction_NS_24const_host_device_scalarIT1_EET3_PKS5_PKT2_SA_S7_PKT4_S5_PKT5_S4_PT6_21rocsparse_index_base_b
    .private_segment_fixed_size: 0
    .sgpr_count:     45
    .sgpr_spill_count: 0
    .symbol:         _ZN9rocsparseL22bsrxmvn_general_kernelILj1024ELj32EfiiDF16_DF16_fEEv20rocsparse_direction_NS_24const_host_device_scalarIT1_EET3_PKS5_PKT2_SA_S7_PKT4_S5_PKT5_S4_PT6_21rocsparse_index_base_b.kd
    .uniform_work_group_size: 1
    .uses_dynamic_stack: false
    .vgpr_count:     18
    .vgpr_spill_count: 0
    .wavefront_size: 64
  - .agpr_count:     0
    .args:
      - .offset:         0
        .size:           4
        .value_kind:     by_value
      - .offset:         8
        .size:           8
        .value_kind:     by_value
      - .offset:         16
        .size:           4
        .value_kind:     by_value
      - .actual_access:  read_only
        .address_space:  global
        .offset:         24
        .size:           8
        .value_kind:     global_buffer
      - .actual_access:  read_only
        .address_space:  global
        .offset:         32
        .size:           8
        .value_kind:     global_buffer
      - .actual_access:  read_only
        .address_space:  global
        .offset:         40
        .size:           8
        .value_kind:     global_buffer
      - .actual_access:  read_only
        .address_space:  global
        .offset:         48
        .size:           8
        .value_kind:     global_buffer
      - .actual_access:  read_only
        .address_space:  global
        .offset:         56
        .size:           8
        .value_kind:     global_buffer
      - .offset:         64
        .size:           4
        .value_kind:     by_value
      - .actual_access:  read_only
        .address_space:  global
        .offset:         72
        .size:           8
        .value_kind:     global_buffer
      - .offset:         80
        .size:           8
        .value_kind:     by_value
      - .address_space:  global
        .offset:         88
        .size:           8
        .value_kind:     global_buffer
      - .offset:         96
        .size:           4
        .value_kind:     by_value
      - .offset:         100
        .size:           1
        .value_kind:     by_value
    .group_segment_fixed_size: 0
    .kernarg_segment_align: 8
    .kernarg_segment_size: 104
    .language:       OpenCL C
    .language_version:
      - 2
      - 0
    .max_flat_workgroup_size: 64
    .name:           _ZN9rocsparseL22bsrxmvn_general_kernelILj64ELj8EfliDF16_DF16_fEEv20rocsparse_direction_NS_24const_host_device_scalarIT1_EET3_PKS5_PKT2_SA_S7_PKT4_S5_PKT5_S4_PT6_21rocsparse_index_base_b
    .private_segment_fixed_size: 0
    .sgpr_count:     48
    .sgpr_spill_count: 0
    .symbol:         _ZN9rocsparseL22bsrxmvn_general_kernelILj64ELj8EfliDF16_DF16_fEEv20rocsparse_direction_NS_24const_host_device_scalarIT1_EET3_PKS5_PKT2_SA_S7_PKT4_S5_PKT5_S4_PT6_21rocsparse_index_base_b.kd
    .uniform_work_group_size: 1
    .uses_dynamic_stack: false
    .vgpr_count:     18
    .vgpr_spill_count: 0
    .wavefront_size: 64
  - .agpr_count:     0
    .args:
      - .offset:         0
        .size:           4
        .value_kind:     by_value
      - .offset:         8
        .size:           8
        .value_kind:     by_value
      - .offset:         16
        .size:           4
        .value_kind:     by_value
      - .actual_access:  read_only
        .address_space:  global
        .offset:         24
        .size:           8
        .value_kind:     global_buffer
      - .actual_access:  read_only
        .address_space:  global
        .offset:         32
        .size:           8
        .value_kind:     global_buffer
      - .actual_access:  read_only
        .address_space:  global
        .offset:         40
        .size:           8
        .value_kind:     global_buffer
      - .actual_access:  read_only
        .address_space:  global
        .offset:         48
        .size:           8
        .value_kind:     global_buffer
      - .actual_access:  read_only
        .address_space:  global
        .offset:         56
        .size:           8
        .value_kind:     global_buffer
      - .offset:         64
        .size:           4
        .value_kind:     by_value
      - .actual_access:  read_only
        .address_space:  global
        .offset:         72
        .size:           8
        .value_kind:     global_buffer
      - .offset:         80
        .size:           8
        .value_kind:     by_value
      - .address_space:  global
        .offset:         88
        .size:           8
        .value_kind:     global_buffer
      - .offset:         96
        .size:           4
        .value_kind:     by_value
      - .offset:         100
        .size:           1
        .value_kind:     by_value
    .group_segment_fixed_size: 0
    .kernarg_segment_align: 8
    .kernarg_segment_size: 104
    .language:       OpenCL C
    .language_version:
      - 2
      - 0
    .max_flat_workgroup_size: 256
    .name:           _ZN9rocsparseL22bsrxmvn_general_kernelILj256ELj16EfliDF16_DF16_fEEv20rocsparse_direction_NS_24const_host_device_scalarIT1_EET3_PKS5_PKT2_SA_S7_PKT4_S5_PKT5_S4_PT6_21rocsparse_index_base_b
    .private_segment_fixed_size: 0
    .sgpr_count:     48
    .sgpr_spill_count: 0
    .symbol:         _ZN9rocsparseL22bsrxmvn_general_kernelILj256ELj16EfliDF16_DF16_fEEv20rocsparse_direction_NS_24const_host_device_scalarIT1_EET3_PKS5_PKT2_SA_S7_PKT4_S5_PKT5_S4_PT6_21rocsparse_index_base_b.kd
    .uniform_work_group_size: 1
    .uses_dynamic_stack: false
    .vgpr_count:     18
    .vgpr_spill_count: 0
    .wavefront_size: 64
  - .agpr_count:     0
    .args:
      - .offset:         0
        .size:           4
        .value_kind:     by_value
      - .offset:         8
        .size:           8
        .value_kind:     by_value
      - .offset:         16
        .size:           4
        .value_kind:     by_value
      - .actual_access:  read_only
        .address_space:  global
        .offset:         24
        .size:           8
        .value_kind:     global_buffer
      - .actual_access:  read_only
        .address_space:  global
        .offset:         32
        .size:           8
        .value_kind:     global_buffer
      - .actual_access:  read_only
        .address_space:  global
        .offset:         40
        .size:           8
        .value_kind:     global_buffer
      - .actual_access:  read_only
        .address_space:  global
        .offset:         48
        .size:           8
        .value_kind:     global_buffer
      - .actual_access:  read_only
        .address_space:  global
        .offset:         56
        .size:           8
        .value_kind:     global_buffer
      - .offset:         64
        .size:           4
        .value_kind:     by_value
      - .actual_access:  read_only
        .address_space:  global
        .offset:         72
        .size:           8
        .value_kind:     global_buffer
      - .offset:         80
        .size:           8
        .value_kind:     by_value
      - .address_space:  global
        .offset:         88
        .size:           8
        .value_kind:     global_buffer
      - .offset:         96
        .size:           4
        .value_kind:     by_value
      - .offset:         100
        .size:           1
        .value_kind:     by_value
    .group_segment_fixed_size: 0
    .kernarg_segment_align: 8
    .kernarg_segment_size: 104
    .language:       OpenCL C
    .language_version:
      - 2
      - 0
    .max_flat_workgroup_size: 1024
    .name:           _ZN9rocsparseL22bsrxmvn_general_kernelILj1024ELj32EfliDF16_DF16_fEEv20rocsparse_direction_NS_24const_host_device_scalarIT1_EET3_PKS5_PKT2_SA_S7_PKT4_S5_PKT5_S4_PT6_21rocsparse_index_base_b
    .private_segment_fixed_size: 0
    .sgpr_count:     48
    .sgpr_spill_count: 0
    .symbol:         _ZN9rocsparseL22bsrxmvn_general_kernelILj1024ELj32EfliDF16_DF16_fEEv20rocsparse_direction_NS_24const_host_device_scalarIT1_EET3_PKS5_PKT2_SA_S7_PKT4_S5_PKT5_S4_PT6_21rocsparse_index_base_b.kd
    .uniform_work_group_size: 1
    .uses_dynamic_stack: false
    .vgpr_count:     18
    .vgpr_spill_count: 0
    .wavefront_size: 64
  - .agpr_count:     0
    .args:
      - .offset:         0
        .size:           4
        .value_kind:     by_value
      - .offset:         8
        .size:           8
        .value_kind:     by_value
      - .offset:         16
        .size:           8
        .value_kind:     by_value
      - .actual_access:  read_only
        .address_space:  global
        .offset:         24
        .size:           8
        .value_kind:     global_buffer
      - .actual_access:  read_only
        .address_space:  global
        .offset:         32
        .size:           8
        .value_kind:     global_buffer
      - .actual_access:  read_only
        .address_space:  global
        .offset:         40
        .size:           8
        .value_kind:     global_buffer
      - .actual_access:  read_only
        .address_space:  global
        .offset:         48
        .size:           8
        .value_kind:     global_buffer
      - .actual_access:  read_only
        .address_space:  global
        .offset:         56
        .size:           8
        .value_kind:     global_buffer
      - .offset:         64
        .size:           8
        .value_kind:     by_value
      - .actual_access:  read_only
        .address_space:  global
        .offset:         72
        .size:           8
        .value_kind:     global_buffer
      - .offset:         80
        .size:           8
        .value_kind:     by_value
      - .address_space:  global
        .offset:         88
        .size:           8
        .value_kind:     global_buffer
      - .offset:         96
        .size:           4
        .value_kind:     by_value
      - .offset:         100
        .size:           1
        .value_kind:     by_value
    .group_segment_fixed_size: 0
    .kernarg_segment_align: 8
    .kernarg_segment_size: 104
    .language:       OpenCL C
    .language_version:
      - 2
      - 0
    .max_flat_workgroup_size: 64
    .name:           _ZN9rocsparseL22bsrxmvn_general_kernelILj64ELj8EfllDF16_DF16_fEEv20rocsparse_direction_NS_24const_host_device_scalarIT1_EET3_PKS5_PKT2_SA_S7_PKT4_S5_PKT5_S4_PT6_21rocsparse_index_base_b
    .private_segment_fixed_size: 0
    .sgpr_count:     48
    .sgpr_spill_count: 0
    .symbol:         _ZN9rocsparseL22bsrxmvn_general_kernelILj64ELj8EfllDF16_DF16_fEEv20rocsparse_direction_NS_24const_host_device_scalarIT1_EET3_PKS5_PKT2_SA_S7_PKT4_S5_PKT5_S4_PT6_21rocsparse_index_base_b.kd
    .uniform_work_group_size: 1
    .uses_dynamic_stack: false
    .vgpr_count:     19
    .vgpr_spill_count: 0
    .wavefront_size: 64
  - .agpr_count:     0
    .args:
      - .offset:         0
        .size:           4
        .value_kind:     by_value
      - .offset:         8
        .size:           8
        .value_kind:     by_value
      - .offset:         16
        .size:           8
        .value_kind:     by_value
      - .actual_access:  read_only
        .address_space:  global
        .offset:         24
        .size:           8
        .value_kind:     global_buffer
      - .actual_access:  read_only
        .address_space:  global
        .offset:         32
        .size:           8
        .value_kind:     global_buffer
      - .actual_access:  read_only
        .address_space:  global
        .offset:         40
        .size:           8
        .value_kind:     global_buffer
      - .actual_access:  read_only
        .address_space:  global
        .offset:         48
        .size:           8
        .value_kind:     global_buffer
      - .actual_access:  read_only
        .address_space:  global
        .offset:         56
        .size:           8
        .value_kind:     global_buffer
      - .offset:         64
        .size:           8
        .value_kind:     by_value
      - .actual_access:  read_only
        .address_space:  global
        .offset:         72
        .size:           8
        .value_kind:     global_buffer
      - .offset:         80
        .size:           8
        .value_kind:     by_value
      - .address_space:  global
        .offset:         88
        .size:           8
        .value_kind:     global_buffer
      - .offset:         96
        .size:           4
        .value_kind:     by_value
      - .offset:         100
        .size:           1
        .value_kind:     by_value
    .group_segment_fixed_size: 0
    .kernarg_segment_align: 8
    .kernarg_segment_size: 104
    .language:       OpenCL C
    .language_version:
      - 2
      - 0
    .max_flat_workgroup_size: 256
    .name:           _ZN9rocsparseL22bsrxmvn_general_kernelILj256ELj16EfllDF16_DF16_fEEv20rocsparse_direction_NS_24const_host_device_scalarIT1_EET3_PKS5_PKT2_SA_S7_PKT4_S5_PKT5_S4_PT6_21rocsparse_index_base_b
    .private_segment_fixed_size: 0
    .sgpr_count:     48
    .sgpr_spill_count: 0
    .symbol:         _ZN9rocsparseL22bsrxmvn_general_kernelILj256ELj16EfllDF16_DF16_fEEv20rocsparse_direction_NS_24const_host_device_scalarIT1_EET3_PKS5_PKT2_SA_S7_PKT4_S5_PKT5_S4_PT6_21rocsparse_index_base_b.kd
    .uniform_work_group_size: 1
    .uses_dynamic_stack: false
    .vgpr_count:     19
    .vgpr_spill_count: 0
    .wavefront_size: 64
  - .agpr_count:     0
    .args:
      - .offset:         0
        .size:           4
        .value_kind:     by_value
      - .offset:         8
        .size:           8
        .value_kind:     by_value
      - .offset:         16
        .size:           8
        .value_kind:     by_value
      - .actual_access:  read_only
        .address_space:  global
        .offset:         24
        .size:           8
        .value_kind:     global_buffer
      - .actual_access:  read_only
        .address_space:  global
        .offset:         32
        .size:           8
        .value_kind:     global_buffer
      - .actual_access:  read_only
        .address_space:  global
        .offset:         40
        .size:           8
        .value_kind:     global_buffer
      - .actual_access:  read_only
        .address_space:  global
        .offset:         48
        .size:           8
        .value_kind:     global_buffer
      - .actual_access:  read_only
        .address_space:  global
        .offset:         56
        .size:           8
        .value_kind:     global_buffer
      - .offset:         64
        .size:           8
        .value_kind:     by_value
      - .actual_access:  read_only
        .address_space:  global
        .offset:         72
        .size:           8
        .value_kind:     global_buffer
      - .offset:         80
        .size:           8
        .value_kind:     by_value
      - .address_space:  global
        .offset:         88
        .size:           8
        .value_kind:     global_buffer
      - .offset:         96
        .size:           4
        .value_kind:     by_value
      - .offset:         100
        .size:           1
        .value_kind:     by_value
    .group_segment_fixed_size: 0
    .kernarg_segment_align: 8
    .kernarg_segment_size: 104
    .language:       OpenCL C
    .language_version:
      - 2
      - 0
    .max_flat_workgroup_size: 1024
    .name:           _ZN9rocsparseL22bsrxmvn_general_kernelILj1024ELj32EfllDF16_DF16_fEEv20rocsparse_direction_NS_24const_host_device_scalarIT1_EET3_PKS5_PKT2_SA_S7_PKT4_S5_PKT5_S4_PT6_21rocsparse_index_base_b
    .private_segment_fixed_size: 0
    .sgpr_count:     48
    .sgpr_spill_count: 0
    .symbol:         _ZN9rocsparseL22bsrxmvn_general_kernelILj1024ELj32EfllDF16_DF16_fEEv20rocsparse_direction_NS_24const_host_device_scalarIT1_EET3_PKS5_PKT2_SA_S7_PKT4_S5_PKT5_S4_PT6_21rocsparse_index_base_b.kd
    .uniform_work_group_size: 1
    .uses_dynamic_stack: false
    .vgpr_count:     19
    .vgpr_spill_count: 0
    .wavefront_size: 64
  - .agpr_count:     0
    .args:
      - .offset:         0
        .size:           4
        .value_kind:     by_value
      - .offset:         8
        .size:           8
        .value_kind:     by_value
      - .offset:         16
        .size:           4
        .value_kind:     by_value
      - .actual_access:  read_only
        .address_space:  global
        .offset:         24
        .size:           8
        .value_kind:     global_buffer
      - .actual_access:  read_only
        .address_space:  global
        .offset:         32
        .size:           8
        .value_kind:     global_buffer
      - .actual_access:  read_only
        .address_space:  global
        .offset:         40
        .size:           8
        .value_kind:     global_buffer
      - .actual_access:  read_only
        .address_space:  global
        .offset:         48
        .size:           8
        .value_kind:     global_buffer
      - .actual_access:  read_only
        .address_space:  global
        .offset:         56
        .size:           8
        .value_kind:     global_buffer
      - .offset:         64
        .size:           4
        .value_kind:     by_value
      - .actual_access:  read_only
        .address_space:  global
        .offset:         72
        .size:           8
        .value_kind:     global_buffer
      - .offset:         80
        .size:           8
        .value_kind:     by_value
      - .address_space:  global
        .offset:         88
        .size:           8
        .value_kind:     global_buffer
      - .offset:         96
        .size:           4
        .value_kind:     by_value
      - .offset:         100
        .size:           1
        .value_kind:     by_value
    .group_segment_fixed_size: 0
    .kernarg_segment_align: 8
    .kernarg_segment_size: 104
    .language:       OpenCL C
    .language_version:
      - 2
      - 0
    .max_flat_workgroup_size: 64
    .name:           _ZN9rocsparseL22bsrxmvn_general_kernelILj64ELj8Efii18rocsparse_bfloat16S1_fEEv20rocsparse_direction_NS_24const_host_device_scalarIT1_EET3_PKS6_PKT2_SB_S8_PKT4_S6_PKT5_S5_PT6_21rocsparse_index_base_b
    .private_segment_fixed_size: 0
    .sgpr_count:     45
    .sgpr_spill_count: 0
    .symbol:         _ZN9rocsparseL22bsrxmvn_general_kernelILj64ELj8Efii18rocsparse_bfloat16S1_fEEv20rocsparse_direction_NS_24const_host_device_scalarIT1_EET3_PKS6_PKT2_SB_S8_PKT4_S6_PKT5_S5_PT6_21rocsparse_index_base_b.kd
    .uniform_work_group_size: 1
    .uses_dynamic_stack: false
    .vgpr_count:     18
    .vgpr_spill_count: 0
    .wavefront_size: 64
  - .agpr_count:     0
    .args:
      - .offset:         0
        .size:           4
        .value_kind:     by_value
      - .offset:         8
        .size:           8
        .value_kind:     by_value
      - .offset:         16
        .size:           4
        .value_kind:     by_value
      - .actual_access:  read_only
        .address_space:  global
        .offset:         24
        .size:           8
        .value_kind:     global_buffer
      - .actual_access:  read_only
        .address_space:  global
        .offset:         32
        .size:           8
        .value_kind:     global_buffer
      - .actual_access:  read_only
        .address_space:  global
        .offset:         40
        .size:           8
        .value_kind:     global_buffer
      - .actual_access:  read_only
        .address_space:  global
        .offset:         48
        .size:           8
        .value_kind:     global_buffer
      - .actual_access:  read_only
        .address_space:  global
        .offset:         56
        .size:           8
        .value_kind:     global_buffer
      - .offset:         64
        .size:           4
        .value_kind:     by_value
      - .actual_access:  read_only
        .address_space:  global
        .offset:         72
        .size:           8
        .value_kind:     global_buffer
      - .offset:         80
        .size:           8
        .value_kind:     by_value
      - .address_space:  global
        .offset:         88
        .size:           8
        .value_kind:     global_buffer
      - .offset:         96
        .size:           4
        .value_kind:     by_value
      - .offset:         100
        .size:           1
        .value_kind:     by_value
    .group_segment_fixed_size: 0
    .kernarg_segment_align: 8
    .kernarg_segment_size: 104
    .language:       OpenCL C
    .language_version:
      - 2
      - 0
    .max_flat_workgroup_size: 256
    .name:           _ZN9rocsparseL22bsrxmvn_general_kernelILj256ELj16Efii18rocsparse_bfloat16S1_fEEv20rocsparse_direction_NS_24const_host_device_scalarIT1_EET3_PKS6_PKT2_SB_S8_PKT4_S6_PKT5_S5_PT6_21rocsparse_index_base_b
    .private_segment_fixed_size: 0
    .sgpr_count:     45
    .sgpr_spill_count: 0
    .symbol:         _ZN9rocsparseL22bsrxmvn_general_kernelILj256ELj16Efii18rocsparse_bfloat16S1_fEEv20rocsparse_direction_NS_24const_host_device_scalarIT1_EET3_PKS6_PKT2_SB_S8_PKT4_S6_PKT5_S5_PT6_21rocsparse_index_base_b.kd
    .uniform_work_group_size: 1
    .uses_dynamic_stack: false
    .vgpr_count:     18
    .vgpr_spill_count: 0
    .wavefront_size: 64
  - .agpr_count:     0
    .args:
      - .offset:         0
        .size:           4
        .value_kind:     by_value
      - .offset:         8
        .size:           8
        .value_kind:     by_value
      - .offset:         16
        .size:           4
        .value_kind:     by_value
      - .actual_access:  read_only
        .address_space:  global
        .offset:         24
        .size:           8
        .value_kind:     global_buffer
      - .actual_access:  read_only
        .address_space:  global
        .offset:         32
        .size:           8
        .value_kind:     global_buffer
      - .actual_access:  read_only
        .address_space:  global
        .offset:         40
        .size:           8
        .value_kind:     global_buffer
      - .actual_access:  read_only
        .address_space:  global
        .offset:         48
        .size:           8
        .value_kind:     global_buffer
      - .actual_access:  read_only
        .address_space:  global
        .offset:         56
        .size:           8
        .value_kind:     global_buffer
      - .offset:         64
        .size:           4
        .value_kind:     by_value
      - .actual_access:  read_only
        .address_space:  global
        .offset:         72
        .size:           8
        .value_kind:     global_buffer
      - .offset:         80
        .size:           8
        .value_kind:     by_value
      - .address_space:  global
        .offset:         88
        .size:           8
        .value_kind:     global_buffer
      - .offset:         96
        .size:           4
        .value_kind:     by_value
      - .offset:         100
        .size:           1
        .value_kind:     by_value
    .group_segment_fixed_size: 0
    .kernarg_segment_align: 8
    .kernarg_segment_size: 104
    .language:       OpenCL C
    .language_version:
      - 2
      - 0
    .max_flat_workgroup_size: 1024
    .name:           _ZN9rocsparseL22bsrxmvn_general_kernelILj1024ELj32Efii18rocsparse_bfloat16S1_fEEv20rocsparse_direction_NS_24const_host_device_scalarIT1_EET3_PKS6_PKT2_SB_S8_PKT4_S6_PKT5_S5_PT6_21rocsparse_index_base_b
    .private_segment_fixed_size: 0
    .sgpr_count:     45
    .sgpr_spill_count: 0
    .symbol:         _ZN9rocsparseL22bsrxmvn_general_kernelILj1024ELj32Efii18rocsparse_bfloat16S1_fEEv20rocsparse_direction_NS_24const_host_device_scalarIT1_EET3_PKS6_PKT2_SB_S8_PKT4_S6_PKT5_S5_PT6_21rocsparse_index_base_b.kd
    .uniform_work_group_size: 1
    .uses_dynamic_stack: false
    .vgpr_count:     18
    .vgpr_spill_count: 0
    .wavefront_size: 64
  - .agpr_count:     0
    .args:
      - .offset:         0
        .size:           4
        .value_kind:     by_value
      - .offset:         8
        .size:           8
        .value_kind:     by_value
      - .offset:         16
        .size:           4
        .value_kind:     by_value
      - .actual_access:  read_only
        .address_space:  global
        .offset:         24
        .size:           8
        .value_kind:     global_buffer
      - .actual_access:  read_only
        .address_space:  global
        .offset:         32
        .size:           8
        .value_kind:     global_buffer
      - .actual_access:  read_only
        .address_space:  global
        .offset:         40
        .size:           8
        .value_kind:     global_buffer
      - .actual_access:  read_only
        .address_space:  global
        .offset:         48
        .size:           8
        .value_kind:     global_buffer
      - .actual_access:  read_only
        .address_space:  global
        .offset:         56
        .size:           8
        .value_kind:     global_buffer
      - .offset:         64
        .size:           4
        .value_kind:     by_value
      - .actual_access:  read_only
        .address_space:  global
        .offset:         72
        .size:           8
        .value_kind:     global_buffer
      - .offset:         80
        .size:           8
        .value_kind:     by_value
      - .address_space:  global
        .offset:         88
        .size:           8
        .value_kind:     global_buffer
      - .offset:         96
        .size:           4
        .value_kind:     by_value
      - .offset:         100
        .size:           1
        .value_kind:     by_value
    .group_segment_fixed_size: 0
    .kernarg_segment_align: 8
    .kernarg_segment_size: 104
    .language:       OpenCL C
    .language_version:
      - 2
      - 0
    .max_flat_workgroup_size: 64
    .name:           _ZN9rocsparseL22bsrxmvn_general_kernelILj64ELj8Efli18rocsparse_bfloat16S1_fEEv20rocsparse_direction_NS_24const_host_device_scalarIT1_EET3_PKS6_PKT2_SB_S8_PKT4_S6_PKT5_S5_PT6_21rocsparse_index_base_b
    .private_segment_fixed_size: 0
    .sgpr_count:     48
    .sgpr_spill_count: 0
    .symbol:         _ZN9rocsparseL22bsrxmvn_general_kernelILj64ELj8Efli18rocsparse_bfloat16S1_fEEv20rocsparse_direction_NS_24const_host_device_scalarIT1_EET3_PKS6_PKT2_SB_S8_PKT4_S6_PKT5_S5_PT6_21rocsparse_index_base_b.kd
    .uniform_work_group_size: 1
    .uses_dynamic_stack: false
    .vgpr_count:     18
    .vgpr_spill_count: 0
    .wavefront_size: 64
  - .agpr_count:     0
    .args:
      - .offset:         0
        .size:           4
        .value_kind:     by_value
      - .offset:         8
        .size:           8
        .value_kind:     by_value
      - .offset:         16
        .size:           4
        .value_kind:     by_value
      - .actual_access:  read_only
        .address_space:  global
        .offset:         24
        .size:           8
        .value_kind:     global_buffer
      - .actual_access:  read_only
        .address_space:  global
        .offset:         32
        .size:           8
        .value_kind:     global_buffer
      - .actual_access:  read_only
        .address_space:  global
        .offset:         40
        .size:           8
        .value_kind:     global_buffer
      - .actual_access:  read_only
        .address_space:  global
        .offset:         48
        .size:           8
        .value_kind:     global_buffer
      - .actual_access:  read_only
        .address_space:  global
        .offset:         56
        .size:           8
        .value_kind:     global_buffer
      - .offset:         64
        .size:           4
        .value_kind:     by_value
      - .actual_access:  read_only
        .address_space:  global
        .offset:         72
        .size:           8
        .value_kind:     global_buffer
      - .offset:         80
        .size:           8
        .value_kind:     by_value
      - .address_space:  global
        .offset:         88
        .size:           8
        .value_kind:     global_buffer
      - .offset:         96
        .size:           4
        .value_kind:     by_value
      - .offset:         100
        .size:           1
        .value_kind:     by_value
    .group_segment_fixed_size: 0
    .kernarg_segment_align: 8
    .kernarg_segment_size: 104
    .language:       OpenCL C
    .language_version:
      - 2
      - 0
    .max_flat_workgroup_size: 256
    .name:           _ZN9rocsparseL22bsrxmvn_general_kernelILj256ELj16Efli18rocsparse_bfloat16S1_fEEv20rocsparse_direction_NS_24const_host_device_scalarIT1_EET3_PKS6_PKT2_SB_S8_PKT4_S6_PKT5_S5_PT6_21rocsparse_index_base_b
    .private_segment_fixed_size: 0
    .sgpr_count:     48
    .sgpr_spill_count: 0
    .symbol:         _ZN9rocsparseL22bsrxmvn_general_kernelILj256ELj16Efli18rocsparse_bfloat16S1_fEEv20rocsparse_direction_NS_24const_host_device_scalarIT1_EET3_PKS6_PKT2_SB_S8_PKT4_S6_PKT5_S5_PT6_21rocsparse_index_base_b.kd
    .uniform_work_group_size: 1
    .uses_dynamic_stack: false
    .vgpr_count:     18
    .vgpr_spill_count: 0
    .wavefront_size: 64
  - .agpr_count:     0
    .args:
      - .offset:         0
        .size:           4
        .value_kind:     by_value
      - .offset:         8
        .size:           8
        .value_kind:     by_value
      - .offset:         16
        .size:           4
        .value_kind:     by_value
      - .actual_access:  read_only
        .address_space:  global
        .offset:         24
        .size:           8
        .value_kind:     global_buffer
      - .actual_access:  read_only
        .address_space:  global
        .offset:         32
        .size:           8
        .value_kind:     global_buffer
      - .actual_access:  read_only
        .address_space:  global
        .offset:         40
        .size:           8
        .value_kind:     global_buffer
      - .actual_access:  read_only
        .address_space:  global
        .offset:         48
        .size:           8
        .value_kind:     global_buffer
      - .actual_access:  read_only
        .address_space:  global
        .offset:         56
        .size:           8
        .value_kind:     global_buffer
      - .offset:         64
        .size:           4
        .value_kind:     by_value
      - .actual_access:  read_only
        .address_space:  global
        .offset:         72
        .size:           8
        .value_kind:     global_buffer
      - .offset:         80
        .size:           8
        .value_kind:     by_value
      - .address_space:  global
        .offset:         88
        .size:           8
        .value_kind:     global_buffer
      - .offset:         96
        .size:           4
        .value_kind:     by_value
      - .offset:         100
        .size:           1
        .value_kind:     by_value
    .group_segment_fixed_size: 0
    .kernarg_segment_align: 8
    .kernarg_segment_size: 104
    .language:       OpenCL C
    .language_version:
      - 2
      - 0
    .max_flat_workgroup_size: 1024
    .name:           _ZN9rocsparseL22bsrxmvn_general_kernelILj1024ELj32Efli18rocsparse_bfloat16S1_fEEv20rocsparse_direction_NS_24const_host_device_scalarIT1_EET3_PKS6_PKT2_SB_S8_PKT4_S6_PKT5_S5_PT6_21rocsparse_index_base_b
    .private_segment_fixed_size: 0
    .sgpr_count:     48
    .sgpr_spill_count: 0
    .symbol:         _ZN9rocsparseL22bsrxmvn_general_kernelILj1024ELj32Efli18rocsparse_bfloat16S1_fEEv20rocsparse_direction_NS_24const_host_device_scalarIT1_EET3_PKS6_PKT2_SB_S8_PKT4_S6_PKT5_S5_PT6_21rocsparse_index_base_b.kd
    .uniform_work_group_size: 1
    .uses_dynamic_stack: false
    .vgpr_count:     18
    .vgpr_spill_count: 0
    .wavefront_size: 64
  - .agpr_count:     0
    .args:
      - .offset:         0
        .size:           4
        .value_kind:     by_value
      - .offset:         8
        .size:           8
        .value_kind:     by_value
      - .offset:         16
        .size:           8
        .value_kind:     by_value
      - .actual_access:  read_only
        .address_space:  global
        .offset:         24
        .size:           8
        .value_kind:     global_buffer
      - .actual_access:  read_only
        .address_space:  global
        .offset:         32
        .size:           8
        .value_kind:     global_buffer
      - .actual_access:  read_only
        .address_space:  global
        .offset:         40
        .size:           8
        .value_kind:     global_buffer
      - .actual_access:  read_only
        .address_space:  global
        .offset:         48
        .size:           8
        .value_kind:     global_buffer
      - .actual_access:  read_only
        .address_space:  global
        .offset:         56
        .size:           8
        .value_kind:     global_buffer
      - .offset:         64
        .size:           8
        .value_kind:     by_value
      - .actual_access:  read_only
        .address_space:  global
        .offset:         72
        .size:           8
        .value_kind:     global_buffer
      - .offset:         80
        .size:           8
        .value_kind:     by_value
      - .address_space:  global
        .offset:         88
        .size:           8
        .value_kind:     global_buffer
      - .offset:         96
        .size:           4
        .value_kind:     by_value
      - .offset:         100
        .size:           1
        .value_kind:     by_value
    .group_segment_fixed_size: 0
    .kernarg_segment_align: 8
    .kernarg_segment_size: 104
    .language:       OpenCL C
    .language_version:
      - 2
      - 0
    .max_flat_workgroup_size: 64
    .name:           _ZN9rocsparseL22bsrxmvn_general_kernelILj64ELj8Efll18rocsparse_bfloat16S1_fEEv20rocsparse_direction_NS_24const_host_device_scalarIT1_EET3_PKS6_PKT2_SB_S8_PKT4_S6_PKT5_S5_PT6_21rocsparse_index_base_b
    .private_segment_fixed_size: 0
    .sgpr_count:     48
    .sgpr_spill_count: 0
    .symbol:         _ZN9rocsparseL22bsrxmvn_general_kernelILj64ELj8Efll18rocsparse_bfloat16S1_fEEv20rocsparse_direction_NS_24const_host_device_scalarIT1_EET3_PKS6_PKT2_SB_S8_PKT4_S6_PKT5_S5_PT6_21rocsparse_index_base_b.kd
    .uniform_work_group_size: 1
    .uses_dynamic_stack: false
    .vgpr_count:     19
    .vgpr_spill_count: 0
    .wavefront_size: 64
  - .agpr_count:     0
    .args:
      - .offset:         0
        .size:           4
        .value_kind:     by_value
      - .offset:         8
        .size:           8
        .value_kind:     by_value
      - .offset:         16
        .size:           8
        .value_kind:     by_value
      - .actual_access:  read_only
        .address_space:  global
        .offset:         24
        .size:           8
        .value_kind:     global_buffer
      - .actual_access:  read_only
        .address_space:  global
        .offset:         32
        .size:           8
        .value_kind:     global_buffer
      - .actual_access:  read_only
        .address_space:  global
        .offset:         40
        .size:           8
        .value_kind:     global_buffer
      - .actual_access:  read_only
        .address_space:  global
        .offset:         48
        .size:           8
        .value_kind:     global_buffer
      - .actual_access:  read_only
        .address_space:  global
        .offset:         56
        .size:           8
        .value_kind:     global_buffer
      - .offset:         64
        .size:           8
        .value_kind:     by_value
      - .actual_access:  read_only
        .address_space:  global
        .offset:         72
        .size:           8
        .value_kind:     global_buffer
      - .offset:         80
        .size:           8
        .value_kind:     by_value
      - .address_space:  global
        .offset:         88
        .size:           8
        .value_kind:     global_buffer
      - .offset:         96
        .size:           4
        .value_kind:     by_value
      - .offset:         100
        .size:           1
        .value_kind:     by_value
    .group_segment_fixed_size: 0
    .kernarg_segment_align: 8
    .kernarg_segment_size: 104
    .language:       OpenCL C
    .language_version:
      - 2
      - 0
    .max_flat_workgroup_size: 256
    .name:           _ZN9rocsparseL22bsrxmvn_general_kernelILj256ELj16Efll18rocsparse_bfloat16S1_fEEv20rocsparse_direction_NS_24const_host_device_scalarIT1_EET3_PKS6_PKT2_SB_S8_PKT4_S6_PKT5_S5_PT6_21rocsparse_index_base_b
    .private_segment_fixed_size: 0
    .sgpr_count:     48
    .sgpr_spill_count: 0
    .symbol:         _ZN9rocsparseL22bsrxmvn_general_kernelILj256ELj16Efll18rocsparse_bfloat16S1_fEEv20rocsparse_direction_NS_24const_host_device_scalarIT1_EET3_PKS6_PKT2_SB_S8_PKT4_S6_PKT5_S5_PT6_21rocsparse_index_base_b.kd
    .uniform_work_group_size: 1
    .uses_dynamic_stack: false
    .vgpr_count:     19
    .vgpr_spill_count: 0
    .wavefront_size: 64
  - .agpr_count:     0
    .args:
      - .offset:         0
        .size:           4
        .value_kind:     by_value
      - .offset:         8
        .size:           8
        .value_kind:     by_value
      - .offset:         16
        .size:           8
        .value_kind:     by_value
      - .actual_access:  read_only
        .address_space:  global
        .offset:         24
        .size:           8
        .value_kind:     global_buffer
      - .actual_access:  read_only
        .address_space:  global
        .offset:         32
        .size:           8
        .value_kind:     global_buffer
      - .actual_access:  read_only
        .address_space:  global
        .offset:         40
        .size:           8
        .value_kind:     global_buffer
      - .actual_access:  read_only
        .address_space:  global
        .offset:         48
        .size:           8
        .value_kind:     global_buffer
      - .actual_access:  read_only
        .address_space:  global
        .offset:         56
        .size:           8
        .value_kind:     global_buffer
      - .offset:         64
        .size:           8
        .value_kind:     by_value
      - .actual_access:  read_only
        .address_space:  global
        .offset:         72
        .size:           8
        .value_kind:     global_buffer
      - .offset:         80
        .size:           8
        .value_kind:     by_value
      - .address_space:  global
        .offset:         88
        .size:           8
        .value_kind:     global_buffer
      - .offset:         96
        .size:           4
        .value_kind:     by_value
      - .offset:         100
        .size:           1
        .value_kind:     by_value
    .group_segment_fixed_size: 0
    .kernarg_segment_align: 8
    .kernarg_segment_size: 104
    .language:       OpenCL C
    .language_version:
      - 2
      - 0
    .max_flat_workgroup_size: 1024
    .name:           _ZN9rocsparseL22bsrxmvn_general_kernelILj1024ELj32Efll18rocsparse_bfloat16S1_fEEv20rocsparse_direction_NS_24const_host_device_scalarIT1_EET3_PKS6_PKT2_SB_S8_PKT4_S6_PKT5_S5_PT6_21rocsparse_index_base_b
    .private_segment_fixed_size: 0
    .sgpr_count:     48
    .sgpr_spill_count: 0
    .symbol:         _ZN9rocsparseL22bsrxmvn_general_kernelILj1024ELj32Efll18rocsparse_bfloat16S1_fEEv20rocsparse_direction_NS_24const_host_device_scalarIT1_EET3_PKS6_PKT2_SB_S8_PKT4_S6_PKT5_S5_PT6_21rocsparse_index_base_b.kd
    .uniform_work_group_size: 1
    .uses_dynamic_stack: false
    .vgpr_count:     19
    .vgpr_spill_count: 0
    .wavefront_size: 64
  - .agpr_count:     0
    .args:
      - .offset:         0
        .size:           4
        .value_kind:     by_value
      - .offset:         8
        .size:           8
        .value_kind:     by_value
      - .offset:         16
        .size:           4
        .value_kind:     by_value
      - .actual_access:  read_only
        .address_space:  global
        .offset:         24
        .size:           8
        .value_kind:     global_buffer
      - .actual_access:  read_only
        .address_space:  global
        .offset:         32
        .size:           8
        .value_kind:     global_buffer
      - .actual_access:  read_only
        .address_space:  global
        .offset:         40
        .size:           8
        .value_kind:     global_buffer
      - .actual_access:  read_only
        .address_space:  global
        .offset:         48
        .size:           8
        .value_kind:     global_buffer
      - .actual_access:  read_only
        .address_space:  global
        .offset:         56
        .size:           8
        .value_kind:     global_buffer
      - .offset:         64
        .size:           4
        .value_kind:     by_value
      - .actual_access:  read_only
        .address_space:  global
        .offset:         72
        .size:           8
        .value_kind:     global_buffer
      - .offset:         80
        .size:           8
        .value_kind:     by_value
      - .address_space:  global
        .offset:         88
        .size:           8
        .value_kind:     global_buffer
      - .offset:         96
        .size:           4
        .value_kind:     by_value
      - .offset:         100
        .size:           1
        .value_kind:     by_value
    .group_segment_fixed_size: 0
    .kernarg_segment_align: 8
    .kernarg_segment_size: 104
    .language:       OpenCL C
    .language_version:
      - 2
      - 0
    .max_flat_workgroup_size: 64
    .name:           _ZN9rocsparseL22bsrxmvn_general_kernelILj64ELj8E21rocsparse_complex_numIfEiifS2_S2_EEv20rocsparse_direction_NS_24const_host_device_scalarIT1_EET3_PKS7_PKT2_SC_S9_PKT4_S7_PKT5_S6_PT6_21rocsparse_index_base_b
    .private_segment_fixed_size: 0
    .sgpr_count:     45
    .sgpr_spill_count: 0
    .symbol:         _ZN9rocsparseL22bsrxmvn_general_kernelILj64ELj8E21rocsparse_complex_numIfEiifS2_S2_EEv20rocsparse_direction_NS_24const_host_device_scalarIT1_EET3_PKS7_PKT2_SC_S9_PKT4_S7_PKT5_S6_PT6_21rocsparse_index_base_b.kd
    .uniform_work_group_size: 1
    .uses_dynamic_stack: false
    .vgpr_count:     29
    .vgpr_spill_count: 0
    .wavefront_size: 64
  - .agpr_count:     0
    .args:
      - .offset:         0
        .size:           4
        .value_kind:     by_value
      - .offset:         8
        .size:           8
        .value_kind:     by_value
      - .offset:         16
        .size:           4
        .value_kind:     by_value
      - .actual_access:  read_only
        .address_space:  global
        .offset:         24
        .size:           8
        .value_kind:     global_buffer
      - .actual_access:  read_only
        .address_space:  global
        .offset:         32
        .size:           8
        .value_kind:     global_buffer
      - .actual_access:  read_only
        .address_space:  global
        .offset:         40
        .size:           8
        .value_kind:     global_buffer
      - .actual_access:  read_only
        .address_space:  global
        .offset:         48
        .size:           8
        .value_kind:     global_buffer
      - .actual_access:  read_only
        .address_space:  global
        .offset:         56
        .size:           8
        .value_kind:     global_buffer
      - .offset:         64
        .size:           4
        .value_kind:     by_value
      - .actual_access:  read_only
        .address_space:  global
        .offset:         72
        .size:           8
        .value_kind:     global_buffer
      - .offset:         80
        .size:           8
        .value_kind:     by_value
      - .address_space:  global
        .offset:         88
        .size:           8
        .value_kind:     global_buffer
      - .offset:         96
        .size:           4
        .value_kind:     by_value
      - .offset:         100
        .size:           1
        .value_kind:     by_value
    .group_segment_fixed_size: 0
    .kernarg_segment_align: 8
    .kernarg_segment_size: 104
    .language:       OpenCL C
    .language_version:
      - 2
      - 0
    .max_flat_workgroup_size: 256
    .name:           _ZN9rocsparseL22bsrxmvn_general_kernelILj256ELj16E21rocsparse_complex_numIfEiifS2_S2_EEv20rocsparse_direction_NS_24const_host_device_scalarIT1_EET3_PKS7_PKT2_SC_S9_PKT4_S7_PKT5_S6_PT6_21rocsparse_index_base_b
    .private_segment_fixed_size: 0
    .sgpr_count:     45
    .sgpr_spill_count: 0
    .symbol:         _ZN9rocsparseL22bsrxmvn_general_kernelILj256ELj16E21rocsparse_complex_numIfEiifS2_S2_EEv20rocsparse_direction_NS_24const_host_device_scalarIT1_EET3_PKS7_PKT2_SC_S9_PKT4_S7_PKT5_S6_PT6_21rocsparse_index_base_b.kd
    .uniform_work_group_size: 1
    .uses_dynamic_stack: false
    .vgpr_count:     29
    .vgpr_spill_count: 0
    .wavefront_size: 64
  - .agpr_count:     0
    .args:
      - .offset:         0
        .size:           4
        .value_kind:     by_value
      - .offset:         8
        .size:           8
        .value_kind:     by_value
      - .offset:         16
        .size:           4
        .value_kind:     by_value
      - .actual_access:  read_only
        .address_space:  global
        .offset:         24
        .size:           8
        .value_kind:     global_buffer
      - .actual_access:  read_only
        .address_space:  global
        .offset:         32
        .size:           8
        .value_kind:     global_buffer
      - .actual_access:  read_only
        .address_space:  global
        .offset:         40
        .size:           8
        .value_kind:     global_buffer
      - .actual_access:  read_only
        .address_space:  global
        .offset:         48
        .size:           8
        .value_kind:     global_buffer
      - .actual_access:  read_only
        .address_space:  global
        .offset:         56
        .size:           8
        .value_kind:     global_buffer
      - .offset:         64
        .size:           4
        .value_kind:     by_value
      - .actual_access:  read_only
        .address_space:  global
        .offset:         72
        .size:           8
        .value_kind:     global_buffer
      - .offset:         80
        .size:           8
        .value_kind:     by_value
      - .address_space:  global
        .offset:         88
        .size:           8
        .value_kind:     global_buffer
      - .offset:         96
        .size:           4
        .value_kind:     by_value
      - .offset:         100
        .size:           1
        .value_kind:     by_value
    .group_segment_fixed_size: 0
    .kernarg_segment_align: 8
    .kernarg_segment_size: 104
    .language:       OpenCL C
    .language_version:
      - 2
      - 0
    .max_flat_workgroup_size: 1024
    .name:           _ZN9rocsparseL22bsrxmvn_general_kernelILj1024ELj32E21rocsparse_complex_numIfEiifS2_S2_EEv20rocsparse_direction_NS_24const_host_device_scalarIT1_EET3_PKS7_PKT2_SC_S9_PKT4_S7_PKT5_S6_PT6_21rocsparse_index_base_b
    .private_segment_fixed_size: 0
    .sgpr_count:     45
    .sgpr_spill_count: 0
    .symbol:         _ZN9rocsparseL22bsrxmvn_general_kernelILj1024ELj32E21rocsparse_complex_numIfEiifS2_S2_EEv20rocsparse_direction_NS_24const_host_device_scalarIT1_EET3_PKS7_PKT2_SC_S9_PKT4_S7_PKT5_S6_PT6_21rocsparse_index_base_b.kd
    .uniform_work_group_size: 1
    .uses_dynamic_stack: false
    .vgpr_count:     29
    .vgpr_spill_count: 0
    .wavefront_size: 64
  - .agpr_count:     0
    .args:
      - .offset:         0
        .size:           4
        .value_kind:     by_value
      - .offset:         8
        .size:           8
        .value_kind:     by_value
      - .offset:         16
        .size:           4
        .value_kind:     by_value
      - .actual_access:  read_only
        .address_space:  global
        .offset:         24
        .size:           8
        .value_kind:     global_buffer
      - .actual_access:  read_only
        .address_space:  global
        .offset:         32
        .size:           8
        .value_kind:     global_buffer
      - .actual_access:  read_only
        .address_space:  global
        .offset:         40
        .size:           8
        .value_kind:     global_buffer
      - .actual_access:  read_only
        .address_space:  global
        .offset:         48
        .size:           8
        .value_kind:     global_buffer
      - .actual_access:  read_only
        .address_space:  global
        .offset:         56
        .size:           8
        .value_kind:     global_buffer
      - .offset:         64
        .size:           4
        .value_kind:     by_value
      - .actual_access:  read_only
        .address_space:  global
        .offset:         72
        .size:           8
        .value_kind:     global_buffer
      - .offset:         80
        .size:           8
        .value_kind:     by_value
      - .address_space:  global
        .offset:         88
        .size:           8
        .value_kind:     global_buffer
      - .offset:         96
        .size:           4
        .value_kind:     by_value
      - .offset:         100
        .size:           1
        .value_kind:     by_value
    .group_segment_fixed_size: 0
    .kernarg_segment_align: 8
    .kernarg_segment_size: 104
    .language:       OpenCL C
    .language_version:
      - 2
      - 0
    .max_flat_workgroup_size: 64
    .name:           _ZN9rocsparseL22bsrxmvn_general_kernelILj64ELj8E21rocsparse_complex_numIfElifS2_S2_EEv20rocsparse_direction_NS_24const_host_device_scalarIT1_EET3_PKS7_PKT2_SC_S9_PKT4_S7_PKT5_S6_PT6_21rocsparse_index_base_b
    .private_segment_fixed_size: 0
    .sgpr_count:     47
    .sgpr_spill_count: 0
    .symbol:         _ZN9rocsparseL22bsrxmvn_general_kernelILj64ELj8E21rocsparse_complex_numIfElifS2_S2_EEv20rocsparse_direction_NS_24const_host_device_scalarIT1_EET3_PKS7_PKT2_SC_S9_PKT4_S7_PKT5_S6_PT6_21rocsparse_index_base_b.kd
    .uniform_work_group_size: 1
    .uses_dynamic_stack: false
    .vgpr_count:     29
    .vgpr_spill_count: 0
    .wavefront_size: 64
  - .agpr_count:     0
    .args:
      - .offset:         0
        .size:           4
        .value_kind:     by_value
      - .offset:         8
        .size:           8
        .value_kind:     by_value
      - .offset:         16
        .size:           4
        .value_kind:     by_value
      - .actual_access:  read_only
        .address_space:  global
        .offset:         24
        .size:           8
        .value_kind:     global_buffer
      - .actual_access:  read_only
        .address_space:  global
        .offset:         32
        .size:           8
        .value_kind:     global_buffer
      - .actual_access:  read_only
        .address_space:  global
        .offset:         40
        .size:           8
        .value_kind:     global_buffer
      - .actual_access:  read_only
        .address_space:  global
        .offset:         48
        .size:           8
        .value_kind:     global_buffer
      - .actual_access:  read_only
        .address_space:  global
        .offset:         56
        .size:           8
        .value_kind:     global_buffer
      - .offset:         64
        .size:           4
        .value_kind:     by_value
      - .actual_access:  read_only
        .address_space:  global
        .offset:         72
        .size:           8
        .value_kind:     global_buffer
      - .offset:         80
        .size:           8
        .value_kind:     by_value
      - .address_space:  global
        .offset:         88
        .size:           8
        .value_kind:     global_buffer
      - .offset:         96
        .size:           4
        .value_kind:     by_value
      - .offset:         100
        .size:           1
        .value_kind:     by_value
    .group_segment_fixed_size: 0
    .kernarg_segment_align: 8
    .kernarg_segment_size: 104
    .language:       OpenCL C
    .language_version:
      - 2
      - 0
    .max_flat_workgroup_size: 256
    .name:           _ZN9rocsparseL22bsrxmvn_general_kernelILj256ELj16E21rocsparse_complex_numIfElifS2_S2_EEv20rocsparse_direction_NS_24const_host_device_scalarIT1_EET3_PKS7_PKT2_SC_S9_PKT4_S7_PKT5_S6_PT6_21rocsparse_index_base_b
    .private_segment_fixed_size: 0
    .sgpr_count:     47
    .sgpr_spill_count: 0
    .symbol:         _ZN9rocsparseL22bsrxmvn_general_kernelILj256ELj16E21rocsparse_complex_numIfElifS2_S2_EEv20rocsparse_direction_NS_24const_host_device_scalarIT1_EET3_PKS7_PKT2_SC_S9_PKT4_S7_PKT5_S6_PT6_21rocsparse_index_base_b.kd
    .uniform_work_group_size: 1
    .uses_dynamic_stack: false
    .vgpr_count:     29
    .vgpr_spill_count: 0
    .wavefront_size: 64
  - .agpr_count:     0
    .args:
      - .offset:         0
        .size:           4
        .value_kind:     by_value
      - .offset:         8
        .size:           8
        .value_kind:     by_value
      - .offset:         16
        .size:           4
        .value_kind:     by_value
      - .actual_access:  read_only
        .address_space:  global
        .offset:         24
        .size:           8
        .value_kind:     global_buffer
      - .actual_access:  read_only
        .address_space:  global
        .offset:         32
        .size:           8
        .value_kind:     global_buffer
      - .actual_access:  read_only
        .address_space:  global
        .offset:         40
        .size:           8
        .value_kind:     global_buffer
      - .actual_access:  read_only
        .address_space:  global
        .offset:         48
        .size:           8
        .value_kind:     global_buffer
      - .actual_access:  read_only
        .address_space:  global
        .offset:         56
        .size:           8
        .value_kind:     global_buffer
      - .offset:         64
        .size:           4
        .value_kind:     by_value
      - .actual_access:  read_only
        .address_space:  global
        .offset:         72
        .size:           8
        .value_kind:     global_buffer
      - .offset:         80
        .size:           8
        .value_kind:     by_value
      - .address_space:  global
        .offset:         88
        .size:           8
        .value_kind:     global_buffer
      - .offset:         96
        .size:           4
        .value_kind:     by_value
      - .offset:         100
        .size:           1
        .value_kind:     by_value
    .group_segment_fixed_size: 0
    .kernarg_segment_align: 8
    .kernarg_segment_size: 104
    .language:       OpenCL C
    .language_version:
      - 2
      - 0
    .max_flat_workgroup_size: 1024
    .name:           _ZN9rocsparseL22bsrxmvn_general_kernelILj1024ELj32E21rocsparse_complex_numIfElifS2_S2_EEv20rocsparse_direction_NS_24const_host_device_scalarIT1_EET3_PKS7_PKT2_SC_S9_PKT4_S7_PKT5_S6_PT6_21rocsparse_index_base_b
    .private_segment_fixed_size: 0
    .sgpr_count:     47
    .sgpr_spill_count: 0
    .symbol:         _ZN9rocsparseL22bsrxmvn_general_kernelILj1024ELj32E21rocsparse_complex_numIfElifS2_S2_EEv20rocsparse_direction_NS_24const_host_device_scalarIT1_EET3_PKS7_PKT2_SC_S9_PKT4_S7_PKT5_S6_PT6_21rocsparse_index_base_b.kd
    .uniform_work_group_size: 1
    .uses_dynamic_stack: false
    .vgpr_count:     29
    .vgpr_spill_count: 0
    .wavefront_size: 64
  - .agpr_count:     0
    .args:
      - .offset:         0
        .size:           4
        .value_kind:     by_value
      - .offset:         8
        .size:           8
        .value_kind:     by_value
      - .offset:         16
        .size:           8
        .value_kind:     by_value
      - .actual_access:  read_only
        .address_space:  global
        .offset:         24
        .size:           8
        .value_kind:     global_buffer
      - .actual_access:  read_only
        .address_space:  global
        .offset:         32
        .size:           8
        .value_kind:     global_buffer
      - .actual_access:  read_only
        .address_space:  global
        .offset:         40
        .size:           8
        .value_kind:     global_buffer
      - .actual_access:  read_only
        .address_space:  global
        .offset:         48
        .size:           8
        .value_kind:     global_buffer
      - .actual_access:  read_only
        .address_space:  global
        .offset:         56
        .size:           8
        .value_kind:     global_buffer
      - .offset:         64
        .size:           8
        .value_kind:     by_value
      - .actual_access:  read_only
        .address_space:  global
        .offset:         72
        .size:           8
        .value_kind:     global_buffer
      - .offset:         80
        .size:           8
        .value_kind:     by_value
      - .address_space:  global
        .offset:         88
        .size:           8
        .value_kind:     global_buffer
      - .offset:         96
        .size:           4
        .value_kind:     by_value
      - .offset:         100
        .size:           1
        .value_kind:     by_value
    .group_segment_fixed_size: 0
    .kernarg_segment_align: 8
    .kernarg_segment_size: 104
    .language:       OpenCL C
    .language_version:
      - 2
      - 0
    .max_flat_workgroup_size: 64
    .name:           _ZN9rocsparseL22bsrxmvn_general_kernelILj64ELj8E21rocsparse_complex_numIfEllfS2_S2_EEv20rocsparse_direction_NS_24const_host_device_scalarIT1_EET3_PKS7_PKT2_SC_S9_PKT4_S7_PKT5_S6_PT6_21rocsparse_index_base_b
    .private_segment_fixed_size: 0
    .sgpr_count:     45
    .sgpr_spill_count: 0
    .symbol:         _ZN9rocsparseL22bsrxmvn_general_kernelILj64ELj8E21rocsparse_complex_numIfEllfS2_S2_EEv20rocsparse_direction_NS_24const_host_device_scalarIT1_EET3_PKS7_PKT2_SC_S9_PKT4_S7_PKT5_S6_PT6_21rocsparse_index_base_b.kd
    .uniform_work_group_size: 1
    .uses_dynamic_stack: false
    .vgpr_count:     32
    .vgpr_spill_count: 0
    .wavefront_size: 64
  - .agpr_count:     0
    .args:
      - .offset:         0
        .size:           4
        .value_kind:     by_value
      - .offset:         8
        .size:           8
        .value_kind:     by_value
      - .offset:         16
        .size:           8
        .value_kind:     by_value
      - .actual_access:  read_only
        .address_space:  global
        .offset:         24
        .size:           8
        .value_kind:     global_buffer
      - .actual_access:  read_only
        .address_space:  global
        .offset:         32
        .size:           8
        .value_kind:     global_buffer
      - .actual_access:  read_only
        .address_space:  global
        .offset:         40
        .size:           8
        .value_kind:     global_buffer
      - .actual_access:  read_only
        .address_space:  global
        .offset:         48
        .size:           8
        .value_kind:     global_buffer
      - .actual_access:  read_only
        .address_space:  global
        .offset:         56
        .size:           8
        .value_kind:     global_buffer
      - .offset:         64
        .size:           8
        .value_kind:     by_value
      - .actual_access:  read_only
        .address_space:  global
        .offset:         72
        .size:           8
        .value_kind:     global_buffer
      - .offset:         80
        .size:           8
        .value_kind:     by_value
      - .address_space:  global
        .offset:         88
        .size:           8
        .value_kind:     global_buffer
      - .offset:         96
        .size:           4
        .value_kind:     by_value
      - .offset:         100
        .size:           1
        .value_kind:     by_value
    .group_segment_fixed_size: 0
    .kernarg_segment_align: 8
    .kernarg_segment_size: 104
    .language:       OpenCL C
    .language_version:
      - 2
      - 0
    .max_flat_workgroup_size: 256
    .name:           _ZN9rocsparseL22bsrxmvn_general_kernelILj256ELj16E21rocsparse_complex_numIfEllfS2_S2_EEv20rocsparse_direction_NS_24const_host_device_scalarIT1_EET3_PKS7_PKT2_SC_S9_PKT4_S7_PKT5_S6_PT6_21rocsparse_index_base_b
    .private_segment_fixed_size: 0
    .sgpr_count:     47
    .sgpr_spill_count: 0
    .symbol:         _ZN9rocsparseL22bsrxmvn_general_kernelILj256ELj16E21rocsparse_complex_numIfEllfS2_S2_EEv20rocsparse_direction_NS_24const_host_device_scalarIT1_EET3_PKS7_PKT2_SC_S9_PKT4_S7_PKT5_S6_PT6_21rocsparse_index_base_b.kd
    .uniform_work_group_size: 1
    .uses_dynamic_stack: false
    .vgpr_count:     32
    .vgpr_spill_count: 0
    .wavefront_size: 64
  - .agpr_count:     0
    .args:
      - .offset:         0
        .size:           4
        .value_kind:     by_value
      - .offset:         8
        .size:           8
        .value_kind:     by_value
      - .offset:         16
        .size:           8
        .value_kind:     by_value
      - .actual_access:  read_only
        .address_space:  global
        .offset:         24
        .size:           8
        .value_kind:     global_buffer
      - .actual_access:  read_only
        .address_space:  global
        .offset:         32
        .size:           8
        .value_kind:     global_buffer
      - .actual_access:  read_only
        .address_space:  global
        .offset:         40
        .size:           8
        .value_kind:     global_buffer
      - .actual_access:  read_only
        .address_space:  global
        .offset:         48
        .size:           8
        .value_kind:     global_buffer
      - .actual_access:  read_only
        .address_space:  global
        .offset:         56
        .size:           8
        .value_kind:     global_buffer
      - .offset:         64
        .size:           8
        .value_kind:     by_value
      - .actual_access:  read_only
        .address_space:  global
        .offset:         72
        .size:           8
        .value_kind:     global_buffer
      - .offset:         80
        .size:           8
        .value_kind:     by_value
      - .address_space:  global
        .offset:         88
        .size:           8
        .value_kind:     global_buffer
      - .offset:         96
        .size:           4
        .value_kind:     by_value
      - .offset:         100
        .size:           1
        .value_kind:     by_value
    .group_segment_fixed_size: 0
    .kernarg_segment_align: 8
    .kernarg_segment_size: 104
    .language:       OpenCL C
    .language_version:
      - 2
      - 0
    .max_flat_workgroup_size: 1024
    .name:           _ZN9rocsparseL22bsrxmvn_general_kernelILj1024ELj32E21rocsparse_complex_numIfEllfS2_S2_EEv20rocsparse_direction_NS_24const_host_device_scalarIT1_EET3_PKS7_PKT2_SC_S9_PKT4_S7_PKT5_S6_PT6_21rocsparse_index_base_b
    .private_segment_fixed_size: 0
    .sgpr_count:     47
    .sgpr_spill_count: 0
    .symbol:         _ZN9rocsparseL22bsrxmvn_general_kernelILj1024ELj32E21rocsparse_complex_numIfEllfS2_S2_EEv20rocsparse_direction_NS_24const_host_device_scalarIT1_EET3_PKS7_PKT2_SC_S9_PKT4_S7_PKT5_S6_PT6_21rocsparse_index_base_b.kd
    .uniform_work_group_size: 1
    .uses_dynamic_stack: false
    .vgpr_count:     32
    .vgpr_spill_count: 0
    .wavefront_size: 64
  - .agpr_count:     0
    .args:
      - .offset:         0
        .size:           4
        .value_kind:     by_value
      - .offset:         8
        .size:           8
        .value_kind:     by_value
      - .offset:         16
        .size:           4
        .value_kind:     by_value
      - .actual_access:  read_only
        .address_space:  global
        .offset:         24
        .size:           8
        .value_kind:     global_buffer
      - .actual_access:  read_only
        .address_space:  global
        .offset:         32
        .size:           8
        .value_kind:     global_buffer
      - .actual_access:  read_only
        .address_space:  global
        .offset:         40
        .size:           8
        .value_kind:     global_buffer
      - .actual_access:  read_only
        .address_space:  global
        .offset:         48
        .size:           8
        .value_kind:     global_buffer
      - .actual_access:  read_only
        .address_space:  global
        .offset:         56
        .size:           8
        .value_kind:     global_buffer
      - .offset:         64
        .size:           4
        .value_kind:     by_value
      - .actual_access:  read_only
        .address_space:  global
        .offset:         72
        .size:           8
        .value_kind:     global_buffer
      - .offset:         80
        .size:           8
        .value_kind:     by_value
      - .address_space:  global
        .offset:         88
        .size:           8
        .value_kind:     global_buffer
      - .offset:         96
        .size:           4
        .value_kind:     by_value
      - .offset:         100
        .size:           1
        .value_kind:     by_value
    .group_segment_fixed_size: 0
    .kernarg_segment_align: 8
    .kernarg_segment_size: 104
    .language:       OpenCL C
    .language_version:
      - 2
      - 0
    .max_flat_workgroup_size: 64
    .name:           _ZN9rocsparseL22bsrxmvn_general_kernelILj64ELj8EdiifddEEv20rocsparse_direction_NS_24const_host_device_scalarIT1_EET3_PKS5_PKT2_SA_S7_PKT4_S5_PKT5_S4_PT6_21rocsparse_index_base_b
    .private_segment_fixed_size: 0
    .sgpr_count:     43
    .sgpr_spill_count: 0
    .symbol:         _ZN9rocsparseL22bsrxmvn_general_kernelILj64ELj8EdiifddEEv20rocsparse_direction_NS_24const_host_device_scalarIT1_EET3_PKS5_PKT2_SA_S7_PKT4_S5_PKT5_S4_PT6_21rocsparse_index_base_b.kd
    .uniform_work_group_size: 1
    .uses_dynamic_stack: false
    .vgpr_count:     24
    .vgpr_spill_count: 0
    .wavefront_size: 64
  - .agpr_count:     0
    .args:
      - .offset:         0
        .size:           4
        .value_kind:     by_value
      - .offset:         8
        .size:           8
        .value_kind:     by_value
      - .offset:         16
        .size:           4
        .value_kind:     by_value
      - .actual_access:  read_only
        .address_space:  global
        .offset:         24
        .size:           8
        .value_kind:     global_buffer
      - .actual_access:  read_only
        .address_space:  global
        .offset:         32
        .size:           8
        .value_kind:     global_buffer
      - .actual_access:  read_only
        .address_space:  global
        .offset:         40
        .size:           8
        .value_kind:     global_buffer
      - .actual_access:  read_only
        .address_space:  global
        .offset:         48
        .size:           8
        .value_kind:     global_buffer
      - .actual_access:  read_only
        .address_space:  global
        .offset:         56
        .size:           8
        .value_kind:     global_buffer
      - .offset:         64
        .size:           4
        .value_kind:     by_value
      - .actual_access:  read_only
        .address_space:  global
        .offset:         72
        .size:           8
        .value_kind:     global_buffer
      - .offset:         80
        .size:           8
        .value_kind:     by_value
      - .address_space:  global
        .offset:         88
        .size:           8
        .value_kind:     global_buffer
      - .offset:         96
        .size:           4
        .value_kind:     by_value
      - .offset:         100
        .size:           1
        .value_kind:     by_value
    .group_segment_fixed_size: 0
    .kernarg_segment_align: 8
    .kernarg_segment_size: 104
    .language:       OpenCL C
    .language_version:
      - 2
      - 0
    .max_flat_workgroup_size: 256
    .name:           _ZN9rocsparseL22bsrxmvn_general_kernelILj256ELj16EdiifddEEv20rocsparse_direction_NS_24const_host_device_scalarIT1_EET3_PKS5_PKT2_SA_S7_PKT4_S5_PKT5_S4_PT6_21rocsparse_index_base_b
    .private_segment_fixed_size: 0
    .sgpr_count:     43
    .sgpr_spill_count: 0
    .symbol:         _ZN9rocsparseL22bsrxmvn_general_kernelILj256ELj16EdiifddEEv20rocsparse_direction_NS_24const_host_device_scalarIT1_EET3_PKS5_PKT2_SA_S7_PKT4_S5_PKT5_S4_PT6_21rocsparse_index_base_b.kd
    .uniform_work_group_size: 1
    .uses_dynamic_stack: false
    .vgpr_count:     24
    .vgpr_spill_count: 0
    .wavefront_size: 64
  - .agpr_count:     0
    .args:
      - .offset:         0
        .size:           4
        .value_kind:     by_value
      - .offset:         8
        .size:           8
        .value_kind:     by_value
      - .offset:         16
        .size:           4
        .value_kind:     by_value
      - .actual_access:  read_only
        .address_space:  global
        .offset:         24
        .size:           8
        .value_kind:     global_buffer
      - .actual_access:  read_only
        .address_space:  global
        .offset:         32
        .size:           8
        .value_kind:     global_buffer
      - .actual_access:  read_only
        .address_space:  global
        .offset:         40
        .size:           8
        .value_kind:     global_buffer
      - .actual_access:  read_only
        .address_space:  global
        .offset:         48
        .size:           8
        .value_kind:     global_buffer
      - .actual_access:  read_only
        .address_space:  global
        .offset:         56
        .size:           8
        .value_kind:     global_buffer
      - .offset:         64
        .size:           4
        .value_kind:     by_value
      - .actual_access:  read_only
        .address_space:  global
        .offset:         72
        .size:           8
        .value_kind:     global_buffer
      - .offset:         80
        .size:           8
        .value_kind:     by_value
      - .address_space:  global
        .offset:         88
        .size:           8
        .value_kind:     global_buffer
      - .offset:         96
        .size:           4
        .value_kind:     by_value
      - .offset:         100
        .size:           1
        .value_kind:     by_value
    .group_segment_fixed_size: 0
    .kernarg_segment_align: 8
    .kernarg_segment_size: 104
    .language:       OpenCL C
    .language_version:
      - 2
      - 0
    .max_flat_workgroup_size: 1024
    .name:           _ZN9rocsparseL22bsrxmvn_general_kernelILj1024ELj32EdiifddEEv20rocsparse_direction_NS_24const_host_device_scalarIT1_EET3_PKS5_PKT2_SA_S7_PKT4_S5_PKT5_S4_PT6_21rocsparse_index_base_b
    .private_segment_fixed_size: 0
    .sgpr_count:     43
    .sgpr_spill_count: 0
    .symbol:         _ZN9rocsparseL22bsrxmvn_general_kernelILj1024ELj32EdiifddEEv20rocsparse_direction_NS_24const_host_device_scalarIT1_EET3_PKS5_PKT2_SA_S7_PKT4_S5_PKT5_S4_PT6_21rocsparse_index_base_b.kd
    .uniform_work_group_size: 1
    .uses_dynamic_stack: false
    .vgpr_count:     24
    .vgpr_spill_count: 0
    .wavefront_size: 64
  - .agpr_count:     0
    .args:
      - .offset:         0
        .size:           4
        .value_kind:     by_value
      - .offset:         8
        .size:           8
        .value_kind:     by_value
      - .offset:         16
        .size:           4
        .value_kind:     by_value
      - .actual_access:  read_only
        .address_space:  global
        .offset:         24
        .size:           8
        .value_kind:     global_buffer
      - .actual_access:  read_only
        .address_space:  global
        .offset:         32
        .size:           8
        .value_kind:     global_buffer
      - .actual_access:  read_only
        .address_space:  global
        .offset:         40
        .size:           8
        .value_kind:     global_buffer
      - .actual_access:  read_only
        .address_space:  global
        .offset:         48
        .size:           8
        .value_kind:     global_buffer
      - .actual_access:  read_only
        .address_space:  global
        .offset:         56
        .size:           8
        .value_kind:     global_buffer
      - .offset:         64
        .size:           4
        .value_kind:     by_value
      - .actual_access:  read_only
        .address_space:  global
        .offset:         72
        .size:           8
        .value_kind:     global_buffer
      - .offset:         80
        .size:           8
        .value_kind:     by_value
      - .address_space:  global
        .offset:         88
        .size:           8
        .value_kind:     global_buffer
      - .offset:         96
        .size:           4
        .value_kind:     by_value
      - .offset:         100
        .size:           1
        .value_kind:     by_value
    .group_segment_fixed_size: 0
    .kernarg_segment_align: 8
    .kernarg_segment_size: 104
    .language:       OpenCL C
    .language_version:
      - 2
      - 0
    .max_flat_workgroup_size: 64
    .name:           _ZN9rocsparseL22bsrxmvn_general_kernelILj64ELj8EdlifddEEv20rocsparse_direction_NS_24const_host_device_scalarIT1_EET3_PKS5_PKT2_SA_S7_PKT4_S5_PKT5_S4_PT6_21rocsparse_index_base_b
    .private_segment_fixed_size: 0
    .sgpr_count:     46
    .sgpr_spill_count: 0
    .symbol:         _ZN9rocsparseL22bsrxmvn_general_kernelILj64ELj8EdlifddEEv20rocsparse_direction_NS_24const_host_device_scalarIT1_EET3_PKS5_PKT2_SA_S7_PKT4_S5_PKT5_S4_PT6_21rocsparse_index_base_b.kd
    .uniform_work_group_size: 1
    .uses_dynamic_stack: false
    .vgpr_count:     24
    .vgpr_spill_count: 0
    .wavefront_size: 64
  - .agpr_count:     0
    .args:
      - .offset:         0
        .size:           4
        .value_kind:     by_value
      - .offset:         8
        .size:           8
        .value_kind:     by_value
      - .offset:         16
        .size:           4
        .value_kind:     by_value
      - .actual_access:  read_only
        .address_space:  global
        .offset:         24
        .size:           8
        .value_kind:     global_buffer
      - .actual_access:  read_only
        .address_space:  global
        .offset:         32
        .size:           8
        .value_kind:     global_buffer
      - .actual_access:  read_only
        .address_space:  global
        .offset:         40
        .size:           8
        .value_kind:     global_buffer
      - .actual_access:  read_only
        .address_space:  global
        .offset:         48
        .size:           8
        .value_kind:     global_buffer
      - .actual_access:  read_only
        .address_space:  global
        .offset:         56
        .size:           8
        .value_kind:     global_buffer
      - .offset:         64
        .size:           4
        .value_kind:     by_value
      - .actual_access:  read_only
        .address_space:  global
        .offset:         72
        .size:           8
        .value_kind:     global_buffer
      - .offset:         80
        .size:           8
        .value_kind:     by_value
      - .address_space:  global
        .offset:         88
        .size:           8
        .value_kind:     global_buffer
      - .offset:         96
        .size:           4
        .value_kind:     by_value
      - .offset:         100
        .size:           1
        .value_kind:     by_value
    .group_segment_fixed_size: 0
    .kernarg_segment_align: 8
    .kernarg_segment_size: 104
    .language:       OpenCL C
    .language_version:
      - 2
      - 0
    .max_flat_workgroup_size: 256
    .name:           _ZN9rocsparseL22bsrxmvn_general_kernelILj256ELj16EdlifddEEv20rocsparse_direction_NS_24const_host_device_scalarIT1_EET3_PKS5_PKT2_SA_S7_PKT4_S5_PKT5_S4_PT6_21rocsparse_index_base_b
    .private_segment_fixed_size: 0
    .sgpr_count:     46
    .sgpr_spill_count: 0
    .symbol:         _ZN9rocsparseL22bsrxmvn_general_kernelILj256ELj16EdlifddEEv20rocsparse_direction_NS_24const_host_device_scalarIT1_EET3_PKS5_PKT2_SA_S7_PKT4_S5_PKT5_S4_PT6_21rocsparse_index_base_b.kd
    .uniform_work_group_size: 1
    .uses_dynamic_stack: false
    .vgpr_count:     24
    .vgpr_spill_count: 0
    .wavefront_size: 64
  - .agpr_count:     0
    .args:
      - .offset:         0
        .size:           4
        .value_kind:     by_value
      - .offset:         8
        .size:           8
        .value_kind:     by_value
      - .offset:         16
        .size:           4
        .value_kind:     by_value
      - .actual_access:  read_only
        .address_space:  global
        .offset:         24
        .size:           8
        .value_kind:     global_buffer
      - .actual_access:  read_only
        .address_space:  global
        .offset:         32
        .size:           8
        .value_kind:     global_buffer
      - .actual_access:  read_only
        .address_space:  global
        .offset:         40
        .size:           8
        .value_kind:     global_buffer
      - .actual_access:  read_only
        .address_space:  global
        .offset:         48
        .size:           8
        .value_kind:     global_buffer
      - .actual_access:  read_only
        .address_space:  global
        .offset:         56
        .size:           8
        .value_kind:     global_buffer
      - .offset:         64
        .size:           4
        .value_kind:     by_value
      - .actual_access:  read_only
        .address_space:  global
        .offset:         72
        .size:           8
        .value_kind:     global_buffer
      - .offset:         80
        .size:           8
        .value_kind:     by_value
      - .address_space:  global
        .offset:         88
        .size:           8
        .value_kind:     global_buffer
      - .offset:         96
        .size:           4
        .value_kind:     by_value
      - .offset:         100
        .size:           1
        .value_kind:     by_value
    .group_segment_fixed_size: 0
    .kernarg_segment_align: 8
    .kernarg_segment_size: 104
    .language:       OpenCL C
    .language_version:
      - 2
      - 0
    .max_flat_workgroup_size: 1024
    .name:           _ZN9rocsparseL22bsrxmvn_general_kernelILj1024ELj32EdlifddEEv20rocsparse_direction_NS_24const_host_device_scalarIT1_EET3_PKS5_PKT2_SA_S7_PKT4_S5_PKT5_S4_PT6_21rocsparse_index_base_b
    .private_segment_fixed_size: 0
    .sgpr_count:     46
    .sgpr_spill_count: 0
    .symbol:         _ZN9rocsparseL22bsrxmvn_general_kernelILj1024ELj32EdlifddEEv20rocsparse_direction_NS_24const_host_device_scalarIT1_EET3_PKS5_PKT2_SA_S7_PKT4_S5_PKT5_S4_PT6_21rocsparse_index_base_b.kd
    .uniform_work_group_size: 1
    .uses_dynamic_stack: false
    .vgpr_count:     24
    .vgpr_spill_count: 0
    .wavefront_size: 64
  - .agpr_count:     0
    .args:
      - .offset:         0
        .size:           4
        .value_kind:     by_value
      - .offset:         8
        .size:           8
        .value_kind:     by_value
      - .offset:         16
        .size:           8
        .value_kind:     by_value
      - .actual_access:  read_only
        .address_space:  global
        .offset:         24
        .size:           8
        .value_kind:     global_buffer
      - .actual_access:  read_only
        .address_space:  global
        .offset:         32
        .size:           8
        .value_kind:     global_buffer
      - .actual_access:  read_only
        .address_space:  global
        .offset:         40
        .size:           8
        .value_kind:     global_buffer
      - .actual_access:  read_only
        .address_space:  global
        .offset:         48
        .size:           8
        .value_kind:     global_buffer
      - .actual_access:  read_only
        .address_space:  global
        .offset:         56
        .size:           8
        .value_kind:     global_buffer
      - .offset:         64
        .size:           8
        .value_kind:     by_value
      - .actual_access:  read_only
        .address_space:  global
        .offset:         72
        .size:           8
        .value_kind:     global_buffer
      - .offset:         80
        .size:           8
        .value_kind:     by_value
      - .address_space:  global
        .offset:         88
        .size:           8
        .value_kind:     global_buffer
      - .offset:         96
        .size:           4
        .value_kind:     by_value
      - .offset:         100
        .size:           1
        .value_kind:     by_value
    .group_segment_fixed_size: 0
    .kernarg_segment_align: 8
    .kernarg_segment_size: 104
    .language:       OpenCL C
    .language_version:
      - 2
      - 0
    .max_flat_workgroup_size: 64
    .name:           _ZN9rocsparseL22bsrxmvn_general_kernelILj64ELj8EdllfddEEv20rocsparse_direction_NS_24const_host_device_scalarIT1_EET3_PKS5_PKT2_SA_S7_PKT4_S5_PKT5_S4_PT6_21rocsparse_index_base_b
    .private_segment_fixed_size: 0
    .sgpr_count:     44
    .sgpr_spill_count: 0
    .symbol:         _ZN9rocsparseL22bsrxmvn_general_kernelILj64ELj8EdllfddEEv20rocsparse_direction_NS_24const_host_device_scalarIT1_EET3_PKS5_PKT2_SA_S7_PKT4_S5_PKT5_S4_PT6_21rocsparse_index_base_b.kd
    .uniform_work_group_size: 1
    .uses_dynamic_stack: false
    .vgpr_count:     25
    .vgpr_spill_count: 0
    .wavefront_size: 64
  - .agpr_count:     0
    .args:
      - .offset:         0
        .size:           4
        .value_kind:     by_value
      - .offset:         8
        .size:           8
        .value_kind:     by_value
      - .offset:         16
        .size:           8
        .value_kind:     by_value
      - .actual_access:  read_only
        .address_space:  global
        .offset:         24
        .size:           8
        .value_kind:     global_buffer
      - .actual_access:  read_only
        .address_space:  global
        .offset:         32
        .size:           8
        .value_kind:     global_buffer
      - .actual_access:  read_only
        .address_space:  global
        .offset:         40
        .size:           8
        .value_kind:     global_buffer
      - .actual_access:  read_only
        .address_space:  global
        .offset:         48
        .size:           8
        .value_kind:     global_buffer
      - .actual_access:  read_only
        .address_space:  global
        .offset:         56
        .size:           8
        .value_kind:     global_buffer
      - .offset:         64
        .size:           8
        .value_kind:     by_value
      - .actual_access:  read_only
        .address_space:  global
        .offset:         72
        .size:           8
        .value_kind:     global_buffer
      - .offset:         80
        .size:           8
        .value_kind:     by_value
      - .address_space:  global
        .offset:         88
        .size:           8
        .value_kind:     global_buffer
      - .offset:         96
        .size:           4
        .value_kind:     by_value
      - .offset:         100
        .size:           1
        .value_kind:     by_value
    .group_segment_fixed_size: 0
    .kernarg_segment_align: 8
    .kernarg_segment_size: 104
    .language:       OpenCL C
    .language_version:
      - 2
      - 0
    .max_flat_workgroup_size: 256
    .name:           _ZN9rocsparseL22bsrxmvn_general_kernelILj256ELj16EdllfddEEv20rocsparse_direction_NS_24const_host_device_scalarIT1_EET3_PKS5_PKT2_SA_S7_PKT4_S5_PKT5_S4_PT6_21rocsparse_index_base_b
    .private_segment_fixed_size: 0
    .sgpr_count:     46
    .sgpr_spill_count: 0
    .symbol:         _ZN9rocsparseL22bsrxmvn_general_kernelILj256ELj16EdllfddEEv20rocsparse_direction_NS_24const_host_device_scalarIT1_EET3_PKS5_PKT2_SA_S7_PKT4_S5_PKT5_S4_PT6_21rocsparse_index_base_b.kd
    .uniform_work_group_size: 1
    .uses_dynamic_stack: false
    .vgpr_count:     25
    .vgpr_spill_count: 0
    .wavefront_size: 64
  - .agpr_count:     0
    .args:
      - .offset:         0
        .size:           4
        .value_kind:     by_value
      - .offset:         8
        .size:           8
        .value_kind:     by_value
      - .offset:         16
        .size:           8
        .value_kind:     by_value
      - .actual_access:  read_only
        .address_space:  global
        .offset:         24
        .size:           8
        .value_kind:     global_buffer
      - .actual_access:  read_only
        .address_space:  global
        .offset:         32
        .size:           8
        .value_kind:     global_buffer
      - .actual_access:  read_only
        .address_space:  global
        .offset:         40
        .size:           8
        .value_kind:     global_buffer
      - .actual_access:  read_only
        .address_space:  global
        .offset:         48
        .size:           8
        .value_kind:     global_buffer
      - .actual_access:  read_only
        .address_space:  global
        .offset:         56
        .size:           8
        .value_kind:     global_buffer
      - .offset:         64
        .size:           8
        .value_kind:     by_value
      - .actual_access:  read_only
        .address_space:  global
        .offset:         72
        .size:           8
        .value_kind:     global_buffer
      - .offset:         80
        .size:           8
        .value_kind:     by_value
      - .address_space:  global
        .offset:         88
        .size:           8
        .value_kind:     global_buffer
      - .offset:         96
        .size:           4
        .value_kind:     by_value
      - .offset:         100
        .size:           1
        .value_kind:     by_value
    .group_segment_fixed_size: 0
    .kernarg_segment_align: 8
    .kernarg_segment_size: 104
    .language:       OpenCL C
    .language_version:
      - 2
      - 0
    .max_flat_workgroup_size: 1024
    .name:           _ZN9rocsparseL22bsrxmvn_general_kernelILj1024ELj32EdllfddEEv20rocsparse_direction_NS_24const_host_device_scalarIT1_EET3_PKS5_PKT2_SA_S7_PKT4_S5_PKT5_S4_PT6_21rocsparse_index_base_b
    .private_segment_fixed_size: 0
    .sgpr_count:     46
    .sgpr_spill_count: 0
    .symbol:         _ZN9rocsparseL22bsrxmvn_general_kernelILj1024ELj32EdllfddEEv20rocsparse_direction_NS_24const_host_device_scalarIT1_EET3_PKS5_PKT2_SA_S7_PKT4_S5_PKT5_S4_PT6_21rocsparse_index_base_b.kd
    .uniform_work_group_size: 1
    .uses_dynamic_stack: false
    .vgpr_count:     25
    .vgpr_spill_count: 0
    .wavefront_size: 64
  - .agpr_count:     0
    .args:
      - .offset:         0
        .size:           4
        .value_kind:     by_value
      - .offset:         8
        .size:           16
        .value_kind:     by_value
      - .offset:         24
        .size:           4
        .value_kind:     by_value
      - .actual_access:  read_only
        .address_space:  global
        .offset:         32
        .size:           8
        .value_kind:     global_buffer
      - .actual_access:  read_only
        .address_space:  global
        .offset:         40
        .size:           8
        .value_kind:     global_buffer
      - .actual_access:  read_only
        .address_space:  global
        .offset:         48
        .size:           8
        .value_kind:     global_buffer
      - .actual_access:  read_only
        .address_space:  global
        .offset:         56
        .size:           8
        .value_kind:     global_buffer
      - .actual_access:  read_only
        .address_space:  global
        .offset:         64
        .size:           8
        .value_kind:     global_buffer
      - .offset:         72
        .size:           4
        .value_kind:     by_value
      - .actual_access:  read_only
        .address_space:  global
        .offset:         80
        .size:           8
        .value_kind:     global_buffer
      - .offset:         88
        .size:           16
        .value_kind:     by_value
      - .address_space:  global
        .offset:         104
        .size:           8
        .value_kind:     global_buffer
      - .offset:         112
        .size:           4
        .value_kind:     by_value
      - .offset:         116
        .size:           1
        .value_kind:     by_value
    .group_segment_fixed_size: 1024
    .kernarg_segment_align: 8
    .kernarg_segment_size: 120
    .language:       OpenCL C
    .language_version:
      - 2
      - 0
    .max_flat_workgroup_size: 64
    .name:           _ZN9rocsparseL22bsrxmvn_general_kernelILj64ELj8E21rocsparse_complex_numIdEiidS2_S2_EEv20rocsparse_direction_NS_24const_host_device_scalarIT1_EET3_PKS7_PKT2_SC_S9_PKT4_S7_PKT5_S6_PT6_21rocsparse_index_base_b
    .private_segment_fixed_size: 0
    .sgpr_count:     43
    .sgpr_spill_count: 0
    .symbol:         _ZN9rocsparseL22bsrxmvn_general_kernelILj64ELj8E21rocsparse_complex_numIdEiidS2_S2_EEv20rocsparse_direction_NS_24const_host_device_scalarIT1_EET3_PKS7_PKT2_SC_S9_PKT4_S7_PKT5_S6_PT6_21rocsparse_index_base_b.kd
    .uniform_work_group_size: 1
    .uses_dynamic_stack: false
    .vgpr_count:     32
    .vgpr_spill_count: 0
    .wavefront_size: 64
  - .agpr_count:     0
    .args:
      - .offset:         0
        .size:           4
        .value_kind:     by_value
      - .offset:         8
        .size:           16
        .value_kind:     by_value
      - .offset:         24
        .size:           4
        .value_kind:     by_value
      - .actual_access:  read_only
        .address_space:  global
        .offset:         32
        .size:           8
        .value_kind:     global_buffer
      - .actual_access:  read_only
        .address_space:  global
        .offset:         40
        .size:           8
        .value_kind:     global_buffer
      - .actual_access:  read_only
        .address_space:  global
        .offset:         48
        .size:           8
        .value_kind:     global_buffer
      - .actual_access:  read_only
        .address_space:  global
        .offset:         56
        .size:           8
        .value_kind:     global_buffer
      - .actual_access:  read_only
        .address_space:  global
        .offset:         64
        .size:           8
        .value_kind:     global_buffer
      - .offset:         72
        .size:           4
        .value_kind:     by_value
      - .actual_access:  read_only
        .address_space:  global
        .offset:         80
        .size:           8
        .value_kind:     global_buffer
      - .offset:         88
        .size:           16
        .value_kind:     by_value
      - .address_space:  global
        .offset:         104
        .size:           8
        .value_kind:     global_buffer
      - .offset:         112
        .size:           4
        .value_kind:     by_value
      - .offset:         116
        .size:           1
        .value_kind:     by_value
    .group_segment_fixed_size: 4096
    .kernarg_segment_align: 8
    .kernarg_segment_size: 120
    .language:       OpenCL C
    .language_version:
      - 2
      - 0
    .max_flat_workgroup_size: 256
    .name:           _ZN9rocsparseL22bsrxmvn_general_kernelILj256ELj16E21rocsparse_complex_numIdEiidS2_S2_EEv20rocsparse_direction_NS_24const_host_device_scalarIT1_EET3_PKS7_PKT2_SC_S9_PKT4_S7_PKT5_S6_PT6_21rocsparse_index_base_b
    .private_segment_fixed_size: 0
    .sgpr_count:     43
    .sgpr_spill_count: 0
    .symbol:         _ZN9rocsparseL22bsrxmvn_general_kernelILj256ELj16E21rocsparse_complex_numIdEiidS2_S2_EEv20rocsparse_direction_NS_24const_host_device_scalarIT1_EET3_PKS7_PKT2_SC_S9_PKT4_S7_PKT5_S6_PT6_21rocsparse_index_base_b.kd
    .uniform_work_group_size: 1
    .uses_dynamic_stack: false
    .vgpr_count:     32
    .vgpr_spill_count: 0
    .wavefront_size: 64
  - .agpr_count:     0
    .args:
      - .offset:         0
        .size:           4
        .value_kind:     by_value
      - .offset:         8
        .size:           16
        .value_kind:     by_value
      - .offset:         24
        .size:           4
        .value_kind:     by_value
      - .actual_access:  read_only
        .address_space:  global
        .offset:         32
        .size:           8
        .value_kind:     global_buffer
      - .actual_access:  read_only
        .address_space:  global
        .offset:         40
        .size:           8
        .value_kind:     global_buffer
      - .actual_access:  read_only
        .address_space:  global
        .offset:         48
        .size:           8
        .value_kind:     global_buffer
      - .actual_access:  read_only
        .address_space:  global
        .offset:         56
        .size:           8
        .value_kind:     global_buffer
      - .actual_access:  read_only
        .address_space:  global
        .offset:         64
        .size:           8
        .value_kind:     global_buffer
      - .offset:         72
        .size:           4
        .value_kind:     by_value
      - .actual_access:  read_only
        .address_space:  global
        .offset:         80
        .size:           8
        .value_kind:     global_buffer
      - .offset:         88
        .size:           16
        .value_kind:     by_value
      - .address_space:  global
        .offset:         104
        .size:           8
        .value_kind:     global_buffer
      - .offset:         112
        .size:           4
        .value_kind:     by_value
      - .offset:         116
        .size:           1
        .value_kind:     by_value
    .group_segment_fixed_size: 16384
    .kernarg_segment_align: 8
    .kernarg_segment_size: 120
    .language:       OpenCL C
    .language_version:
      - 2
      - 0
    .max_flat_workgroup_size: 1024
    .name:           _ZN9rocsparseL22bsrxmvn_general_kernelILj1024ELj32E21rocsparse_complex_numIdEiidS2_S2_EEv20rocsparse_direction_NS_24const_host_device_scalarIT1_EET3_PKS7_PKT2_SC_S9_PKT4_S7_PKT5_S6_PT6_21rocsparse_index_base_b
    .private_segment_fixed_size: 0
    .sgpr_count:     43
    .sgpr_spill_count: 0
    .symbol:         _ZN9rocsparseL22bsrxmvn_general_kernelILj1024ELj32E21rocsparse_complex_numIdEiidS2_S2_EEv20rocsparse_direction_NS_24const_host_device_scalarIT1_EET3_PKS7_PKT2_SC_S9_PKT4_S7_PKT5_S6_PT6_21rocsparse_index_base_b.kd
    .uniform_work_group_size: 1
    .uses_dynamic_stack: false
    .vgpr_count:     32
    .vgpr_spill_count: 0
    .wavefront_size: 64
  - .agpr_count:     0
    .args:
      - .offset:         0
        .size:           4
        .value_kind:     by_value
      - .offset:         8
        .size:           16
        .value_kind:     by_value
      - .offset:         24
        .size:           4
        .value_kind:     by_value
      - .actual_access:  read_only
        .address_space:  global
        .offset:         32
        .size:           8
        .value_kind:     global_buffer
      - .actual_access:  read_only
        .address_space:  global
        .offset:         40
        .size:           8
        .value_kind:     global_buffer
      - .actual_access:  read_only
        .address_space:  global
        .offset:         48
        .size:           8
        .value_kind:     global_buffer
      - .actual_access:  read_only
        .address_space:  global
        .offset:         56
        .size:           8
        .value_kind:     global_buffer
      - .actual_access:  read_only
        .address_space:  global
        .offset:         64
        .size:           8
        .value_kind:     global_buffer
      - .offset:         72
        .size:           4
        .value_kind:     by_value
      - .actual_access:  read_only
        .address_space:  global
        .offset:         80
        .size:           8
        .value_kind:     global_buffer
      - .offset:         88
        .size:           16
        .value_kind:     by_value
      - .address_space:  global
        .offset:         104
        .size:           8
        .value_kind:     global_buffer
      - .offset:         112
        .size:           4
        .value_kind:     by_value
      - .offset:         116
        .size:           1
        .value_kind:     by_value
    .group_segment_fixed_size: 1024
    .kernarg_segment_align: 8
    .kernarg_segment_size: 120
    .language:       OpenCL C
    .language_version:
      - 2
      - 0
    .max_flat_workgroup_size: 64
    .name:           _ZN9rocsparseL22bsrxmvn_general_kernelILj64ELj8E21rocsparse_complex_numIdElidS2_S2_EEv20rocsparse_direction_NS_24const_host_device_scalarIT1_EET3_PKS7_PKT2_SC_S9_PKT4_S7_PKT5_S6_PT6_21rocsparse_index_base_b
    .private_segment_fixed_size: 0
    .sgpr_count:     46
    .sgpr_spill_count: 0
    .symbol:         _ZN9rocsparseL22bsrxmvn_general_kernelILj64ELj8E21rocsparse_complex_numIdElidS2_S2_EEv20rocsparse_direction_NS_24const_host_device_scalarIT1_EET3_PKS7_PKT2_SC_S9_PKT4_S7_PKT5_S6_PT6_21rocsparse_index_base_b.kd
    .uniform_work_group_size: 1
    .uses_dynamic_stack: false
    .vgpr_count:     32
    .vgpr_spill_count: 0
    .wavefront_size: 64
  - .agpr_count:     0
    .args:
      - .offset:         0
        .size:           4
        .value_kind:     by_value
      - .offset:         8
        .size:           16
        .value_kind:     by_value
      - .offset:         24
        .size:           4
        .value_kind:     by_value
      - .actual_access:  read_only
        .address_space:  global
        .offset:         32
        .size:           8
        .value_kind:     global_buffer
      - .actual_access:  read_only
        .address_space:  global
        .offset:         40
        .size:           8
        .value_kind:     global_buffer
      - .actual_access:  read_only
        .address_space:  global
        .offset:         48
        .size:           8
        .value_kind:     global_buffer
      - .actual_access:  read_only
        .address_space:  global
        .offset:         56
        .size:           8
        .value_kind:     global_buffer
      - .actual_access:  read_only
        .address_space:  global
        .offset:         64
        .size:           8
        .value_kind:     global_buffer
      - .offset:         72
        .size:           4
        .value_kind:     by_value
      - .actual_access:  read_only
        .address_space:  global
        .offset:         80
        .size:           8
        .value_kind:     global_buffer
      - .offset:         88
        .size:           16
        .value_kind:     by_value
      - .address_space:  global
        .offset:         104
        .size:           8
        .value_kind:     global_buffer
      - .offset:         112
        .size:           4
        .value_kind:     by_value
      - .offset:         116
        .size:           1
        .value_kind:     by_value
    .group_segment_fixed_size: 4096
    .kernarg_segment_align: 8
    .kernarg_segment_size: 120
    .language:       OpenCL C
    .language_version:
      - 2
      - 0
    .max_flat_workgroup_size: 256
    .name:           _ZN9rocsparseL22bsrxmvn_general_kernelILj256ELj16E21rocsparse_complex_numIdElidS2_S2_EEv20rocsparse_direction_NS_24const_host_device_scalarIT1_EET3_PKS7_PKT2_SC_S9_PKT4_S7_PKT5_S6_PT6_21rocsparse_index_base_b
    .private_segment_fixed_size: 0
    .sgpr_count:     46
    .sgpr_spill_count: 0
    .symbol:         _ZN9rocsparseL22bsrxmvn_general_kernelILj256ELj16E21rocsparse_complex_numIdElidS2_S2_EEv20rocsparse_direction_NS_24const_host_device_scalarIT1_EET3_PKS7_PKT2_SC_S9_PKT4_S7_PKT5_S6_PT6_21rocsparse_index_base_b.kd
    .uniform_work_group_size: 1
    .uses_dynamic_stack: false
    .vgpr_count:     32
    .vgpr_spill_count: 0
    .wavefront_size: 64
  - .agpr_count:     0
    .args:
      - .offset:         0
        .size:           4
        .value_kind:     by_value
      - .offset:         8
        .size:           16
        .value_kind:     by_value
      - .offset:         24
        .size:           4
        .value_kind:     by_value
      - .actual_access:  read_only
        .address_space:  global
        .offset:         32
        .size:           8
        .value_kind:     global_buffer
      - .actual_access:  read_only
        .address_space:  global
        .offset:         40
        .size:           8
        .value_kind:     global_buffer
      - .actual_access:  read_only
        .address_space:  global
        .offset:         48
        .size:           8
        .value_kind:     global_buffer
      - .actual_access:  read_only
        .address_space:  global
        .offset:         56
        .size:           8
        .value_kind:     global_buffer
      - .actual_access:  read_only
        .address_space:  global
        .offset:         64
        .size:           8
        .value_kind:     global_buffer
      - .offset:         72
        .size:           4
        .value_kind:     by_value
      - .actual_access:  read_only
        .address_space:  global
        .offset:         80
        .size:           8
        .value_kind:     global_buffer
      - .offset:         88
        .size:           16
        .value_kind:     by_value
      - .address_space:  global
        .offset:         104
        .size:           8
        .value_kind:     global_buffer
      - .offset:         112
        .size:           4
        .value_kind:     by_value
      - .offset:         116
        .size:           1
        .value_kind:     by_value
    .group_segment_fixed_size: 16384
    .kernarg_segment_align: 8
    .kernarg_segment_size: 120
    .language:       OpenCL C
    .language_version:
      - 2
      - 0
    .max_flat_workgroup_size: 1024
    .name:           _ZN9rocsparseL22bsrxmvn_general_kernelILj1024ELj32E21rocsparse_complex_numIdElidS2_S2_EEv20rocsparse_direction_NS_24const_host_device_scalarIT1_EET3_PKS7_PKT2_SC_S9_PKT4_S7_PKT5_S6_PT6_21rocsparse_index_base_b
    .private_segment_fixed_size: 0
    .sgpr_count:     46
    .sgpr_spill_count: 0
    .symbol:         _ZN9rocsparseL22bsrxmvn_general_kernelILj1024ELj32E21rocsparse_complex_numIdElidS2_S2_EEv20rocsparse_direction_NS_24const_host_device_scalarIT1_EET3_PKS7_PKT2_SC_S9_PKT4_S7_PKT5_S6_PT6_21rocsparse_index_base_b.kd
    .uniform_work_group_size: 1
    .uses_dynamic_stack: false
    .vgpr_count:     32
    .vgpr_spill_count: 0
    .wavefront_size: 64
  - .agpr_count:     0
    .args:
      - .offset:         0
        .size:           4
        .value_kind:     by_value
      - .offset:         8
        .size:           16
        .value_kind:     by_value
      - .offset:         24
        .size:           8
        .value_kind:     by_value
      - .actual_access:  read_only
        .address_space:  global
        .offset:         32
        .size:           8
        .value_kind:     global_buffer
      - .actual_access:  read_only
        .address_space:  global
        .offset:         40
        .size:           8
        .value_kind:     global_buffer
      - .actual_access:  read_only
        .address_space:  global
        .offset:         48
        .size:           8
        .value_kind:     global_buffer
      - .actual_access:  read_only
        .address_space:  global
        .offset:         56
        .size:           8
        .value_kind:     global_buffer
      - .actual_access:  read_only
        .address_space:  global
        .offset:         64
        .size:           8
        .value_kind:     global_buffer
      - .offset:         72
        .size:           8
        .value_kind:     by_value
      - .actual_access:  read_only
        .address_space:  global
        .offset:         80
        .size:           8
        .value_kind:     global_buffer
      - .offset:         88
        .size:           16
        .value_kind:     by_value
      - .address_space:  global
        .offset:         104
        .size:           8
        .value_kind:     global_buffer
      - .offset:         112
        .size:           4
        .value_kind:     by_value
      - .offset:         116
        .size:           1
        .value_kind:     by_value
    .group_segment_fixed_size: 1024
    .kernarg_segment_align: 8
    .kernarg_segment_size: 120
    .language:       OpenCL C
    .language_version:
      - 2
      - 0
    .max_flat_workgroup_size: 64
    .name:           _ZN9rocsparseL22bsrxmvn_general_kernelILj64ELj8E21rocsparse_complex_numIdElldS2_S2_EEv20rocsparse_direction_NS_24const_host_device_scalarIT1_EET3_PKS7_PKT2_SC_S9_PKT4_S7_PKT5_S6_PT6_21rocsparse_index_base_b
    .private_segment_fixed_size: 0
    .sgpr_count:     46
    .sgpr_spill_count: 0
    .symbol:         _ZN9rocsparseL22bsrxmvn_general_kernelILj64ELj8E21rocsparse_complex_numIdElldS2_S2_EEv20rocsparse_direction_NS_24const_host_device_scalarIT1_EET3_PKS7_PKT2_SC_S9_PKT4_S7_PKT5_S6_PT6_21rocsparse_index_base_b.kd
    .uniform_work_group_size: 1
    .uses_dynamic_stack: false
    .vgpr_count:     34
    .vgpr_spill_count: 0
    .wavefront_size: 64
  - .agpr_count:     0
    .args:
      - .offset:         0
        .size:           4
        .value_kind:     by_value
      - .offset:         8
        .size:           16
        .value_kind:     by_value
      - .offset:         24
        .size:           8
        .value_kind:     by_value
      - .actual_access:  read_only
        .address_space:  global
        .offset:         32
        .size:           8
        .value_kind:     global_buffer
      - .actual_access:  read_only
        .address_space:  global
        .offset:         40
        .size:           8
        .value_kind:     global_buffer
      - .actual_access:  read_only
        .address_space:  global
        .offset:         48
        .size:           8
        .value_kind:     global_buffer
      - .actual_access:  read_only
        .address_space:  global
        .offset:         56
        .size:           8
        .value_kind:     global_buffer
      - .actual_access:  read_only
        .address_space:  global
        .offset:         64
        .size:           8
        .value_kind:     global_buffer
      - .offset:         72
        .size:           8
        .value_kind:     by_value
      - .actual_access:  read_only
        .address_space:  global
        .offset:         80
        .size:           8
        .value_kind:     global_buffer
      - .offset:         88
        .size:           16
        .value_kind:     by_value
      - .address_space:  global
        .offset:         104
        .size:           8
        .value_kind:     global_buffer
      - .offset:         112
        .size:           4
        .value_kind:     by_value
      - .offset:         116
        .size:           1
        .value_kind:     by_value
    .group_segment_fixed_size: 4096
    .kernarg_segment_align: 8
    .kernarg_segment_size: 120
    .language:       OpenCL C
    .language_version:
      - 2
      - 0
    .max_flat_workgroup_size: 256
    .name:           _ZN9rocsparseL22bsrxmvn_general_kernelILj256ELj16E21rocsparse_complex_numIdElldS2_S2_EEv20rocsparse_direction_NS_24const_host_device_scalarIT1_EET3_PKS7_PKT2_SC_S9_PKT4_S7_PKT5_S6_PT6_21rocsparse_index_base_b
    .private_segment_fixed_size: 0
    .sgpr_count:     44
    .sgpr_spill_count: 0
    .symbol:         _ZN9rocsparseL22bsrxmvn_general_kernelILj256ELj16E21rocsparse_complex_numIdElldS2_S2_EEv20rocsparse_direction_NS_24const_host_device_scalarIT1_EET3_PKS7_PKT2_SC_S9_PKT4_S7_PKT5_S6_PT6_21rocsparse_index_base_b.kd
    .uniform_work_group_size: 1
    .uses_dynamic_stack: false
    .vgpr_count:     34
    .vgpr_spill_count: 0
    .wavefront_size: 64
  - .agpr_count:     0
    .args:
      - .offset:         0
        .size:           4
        .value_kind:     by_value
      - .offset:         8
        .size:           16
        .value_kind:     by_value
      - .offset:         24
        .size:           8
        .value_kind:     by_value
      - .actual_access:  read_only
        .address_space:  global
        .offset:         32
        .size:           8
        .value_kind:     global_buffer
      - .actual_access:  read_only
        .address_space:  global
        .offset:         40
        .size:           8
        .value_kind:     global_buffer
      - .actual_access:  read_only
        .address_space:  global
        .offset:         48
        .size:           8
        .value_kind:     global_buffer
      - .actual_access:  read_only
        .address_space:  global
        .offset:         56
        .size:           8
        .value_kind:     global_buffer
      - .actual_access:  read_only
        .address_space:  global
        .offset:         64
        .size:           8
        .value_kind:     global_buffer
      - .offset:         72
        .size:           8
        .value_kind:     by_value
      - .actual_access:  read_only
        .address_space:  global
        .offset:         80
        .size:           8
        .value_kind:     global_buffer
      - .offset:         88
        .size:           16
        .value_kind:     by_value
      - .address_space:  global
        .offset:         104
        .size:           8
        .value_kind:     global_buffer
      - .offset:         112
        .size:           4
        .value_kind:     by_value
      - .offset:         116
        .size:           1
        .value_kind:     by_value
    .group_segment_fixed_size: 16384
    .kernarg_segment_align: 8
    .kernarg_segment_size: 120
    .language:       OpenCL C
    .language_version:
      - 2
      - 0
    .max_flat_workgroup_size: 1024
    .name:           _ZN9rocsparseL22bsrxmvn_general_kernelILj1024ELj32E21rocsparse_complex_numIdElldS2_S2_EEv20rocsparse_direction_NS_24const_host_device_scalarIT1_EET3_PKS7_PKT2_SC_S9_PKT4_S7_PKT5_S6_PT6_21rocsparse_index_base_b
    .private_segment_fixed_size: 0
    .sgpr_count:     46
    .sgpr_spill_count: 0
    .symbol:         _ZN9rocsparseL22bsrxmvn_general_kernelILj1024ELj32E21rocsparse_complex_numIdElldS2_S2_EEv20rocsparse_direction_NS_24const_host_device_scalarIT1_EET3_PKS7_PKT2_SC_S9_PKT4_S7_PKT5_S6_PT6_21rocsparse_index_base_b.kd
    .uniform_work_group_size: 1
    .uses_dynamic_stack: false
    .vgpr_count:     34
    .vgpr_spill_count: 0
    .wavefront_size: 64
  - .agpr_count:     0
    .args:
      - .offset:         0
        .size:           4
        .value_kind:     by_value
      - .offset:         8
        .size:           16
        .value_kind:     by_value
      - .offset:         24
        .size:           4
        .value_kind:     by_value
      - .actual_access:  read_only
        .address_space:  global
        .offset:         32
        .size:           8
        .value_kind:     global_buffer
      - .actual_access:  read_only
        .address_space:  global
        .offset:         40
        .size:           8
        .value_kind:     global_buffer
      - .actual_access:  read_only
        .address_space:  global
        .offset:         48
        .size:           8
        .value_kind:     global_buffer
      - .actual_access:  read_only
        .address_space:  global
        .offset:         56
        .size:           8
        .value_kind:     global_buffer
      - .actual_access:  read_only
        .address_space:  global
        .offset:         64
        .size:           8
        .value_kind:     global_buffer
      - .offset:         72
        .size:           4
        .value_kind:     by_value
      - .actual_access:  read_only
        .address_space:  global
        .offset:         80
        .size:           8
        .value_kind:     global_buffer
      - .offset:         88
        .size:           16
        .value_kind:     by_value
      - .address_space:  global
        .offset:         104
        .size:           8
        .value_kind:     global_buffer
      - .offset:         112
        .size:           4
        .value_kind:     by_value
      - .offset:         116
        .size:           1
        .value_kind:     by_value
    .group_segment_fixed_size: 1024
    .kernarg_segment_align: 8
    .kernarg_segment_size: 120
    .language:       OpenCL C
    .language_version:
      - 2
      - 0
    .max_flat_workgroup_size: 64
    .name:           _ZN9rocsparseL22bsrxmvn_general_kernelILj64ELj8E21rocsparse_complex_numIdEiiS1_IfES2_S2_EEv20rocsparse_direction_NS_24const_host_device_scalarIT1_EET3_PKS8_PKT2_SD_SA_PKT4_S8_PKT5_S7_PT6_21rocsparse_index_base_b
    .private_segment_fixed_size: 0
    .sgpr_count:     43
    .sgpr_spill_count: 0
    .symbol:         _ZN9rocsparseL22bsrxmvn_general_kernelILj64ELj8E21rocsparse_complex_numIdEiiS1_IfES2_S2_EEv20rocsparse_direction_NS_24const_host_device_scalarIT1_EET3_PKS8_PKT2_SD_SA_PKT4_S8_PKT5_S7_PT6_21rocsparse_index_base_b.kd
    .uniform_work_group_size: 1
    .uses_dynamic_stack: false
    .vgpr_count:     34
    .vgpr_spill_count: 0
    .wavefront_size: 64
  - .agpr_count:     0
    .args:
      - .offset:         0
        .size:           4
        .value_kind:     by_value
      - .offset:         8
        .size:           16
        .value_kind:     by_value
      - .offset:         24
        .size:           4
        .value_kind:     by_value
      - .actual_access:  read_only
        .address_space:  global
        .offset:         32
        .size:           8
        .value_kind:     global_buffer
      - .actual_access:  read_only
        .address_space:  global
        .offset:         40
        .size:           8
        .value_kind:     global_buffer
      - .actual_access:  read_only
        .address_space:  global
        .offset:         48
        .size:           8
        .value_kind:     global_buffer
      - .actual_access:  read_only
        .address_space:  global
        .offset:         56
        .size:           8
        .value_kind:     global_buffer
      - .actual_access:  read_only
        .address_space:  global
        .offset:         64
        .size:           8
        .value_kind:     global_buffer
      - .offset:         72
        .size:           4
        .value_kind:     by_value
      - .actual_access:  read_only
        .address_space:  global
        .offset:         80
        .size:           8
        .value_kind:     global_buffer
      - .offset:         88
        .size:           16
        .value_kind:     by_value
      - .address_space:  global
        .offset:         104
        .size:           8
        .value_kind:     global_buffer
      - .offset:         112
        .size:           4
        .value_kind:     by_value
      - .offset:         116
        .size:           1
        .value_kind:     by_value
    .group_segment_fixed_size: 4096
    .kernarg_segment_align: 8
    .kernarg_segment_size: 120
    .language:       OpenCL C
    .language_version:
      - 2
      - 0
    .max_flat_workgroup_size: 256
    .name:           _ZN9rocsparseL22bsrxmvn_general_kernelILj256ELj16E21rocsparse_complex_numIdEiiS1_IfES2_S2_EEv20rocsparse_direction_NS_24const_host_device_scalarIT1_EET3_PKS8_PKT2_SD_SA_PKT4_S8_PKT5_S7_PT6_21rocsparse_index_base_b
    .private_segment_fixed_size: 0
    .sgpr_count:     43
    .sgpr_spill_count: 0
    .symbol:         _ZN9rocsparseL22bsrxmvn_general_kernelILj256ELj16E21rocsparse_complex_numIdEiiS1_IfES2_S2_EEv20rocsparse_direction_NS_24const_host_device_scalarIT1_EET3_PKS8_PKT2_SD_SA_PKT4_S8_PKT5_S7_PT6_21rocsparse_index_base_b.kd
    .uniform_work_group_size: 1
    .uses_dynamic_stack: false
    .vgpr_count:     34
    .vgpr_spill_count: 0
    .wavefront_size: 64
  - .agpr_count:     0
    .args:
      - .offset:         0
        .size:           4
        .value_kind:     by_value
      - .offset:         8
        .size:           16
        .value_kind:     by_value
      - .offset:         24
        .size:           4
        .value_kind:     by_value
      - .actual_access:  read_only
        .address_space:  global
        .offset:         32
        .size:           8
        .value_kind:     global_buffer
      - .actual_access:  read_only
        .address_space:  global
        .offset:         40
        .size:           8
        .value_kind:     global_buffer
      - .actual_access:  read_only
        .address_space:  global
        .offset:         48
        .size:           8
        .value_kind:     global_buffer
      - .actual_access:  read_only
        .address_space:  global
        .offset:         56
        .size:           8
        .value_kind:     global_buffer
      - .actual_access:  read_only
        .address_space:  global
        .offset:         64
        .size:           8
        .value_kind:     global_buffer
      - .offset:         72
        .size:           4
        .value_kind:     by_value
      - .actual_access:  read_only
        .address_space:  global
        .offset:         80
        .size:           8
        .value_kind:     global_buffer
      - .offset:         88
        .size:           16
        .value_kind:     by_value
      - .address_space:  global
        .offset:         104
        .size:           8
        .value_kind:     global_buffer
      - .offset:         112
        .size:           4
        .value_kind:     by_value
      - .offset:         116
        .size:           1
        .value_kind:     by_value
    .group_segment_fixed_size: 16384
    .kernarg_segment_align: 8
    .kernarg_segment_size: 120
    .language:       OpenCL C
    .language_version:
      - 2
      - 0
    .max_flat_workgroup_size: 1024
    .name:           _ZN9rocsparseL22bsrxmvn_general_kernelILj1024ELj32E21rocsparse_complex_numIdEiiS1_IfES2_S2_EEv20rocsparse_direction_NS_24const_host_device_scalarIT1_EET3_PKS8_PKT2_SD_SA_PKT4_S8_PKT5_S7_PT6_21rocsparse_index_base_b
    .private_segment_fixed_size: 0
    .sgpr_count:     43
    .sgpr_spill_count: 0
    .symbol:         _ZN9rocsparseL22bsrxmvn_general_kernelILj1024ELj32E21rocsparse_complex_numIdEiiS1_IfES2_S2_EEv20rocsparse_direction_NS_24const_host_device_scalarIT1_EET3_PKS8_PKT2_SD_SA_PKT4_S8_PKT5_S7_PT6_21rocsparse_index_base_b.kd
    .uniform_work_group_size: 1
    .uses_dynamic_stack: false
    .vgpr_count:     34
    .vgpr_spill_count: 0
    .wavefront_size: 64
  - .agpr_count:     0
    .args:
      - .offset:         0
        .size:           4
        .value_kind:     by_value
      - .offset:         8
        .size:           16
        .value_kind:     by_value
      - .offset:         24
        .size:           4
        .value_kind:     by_value
      - .actual_access:  read_only
        .address_space:  global
        .offset:         32
        .size:           8
        .value_kind:     global_buffer
      - .actual_access:  read_only
        .address_space:  global
        .offset:         40
        .size:           8
        .value_kind:     global_buffer
      - .actual_access:  read_only
        .address_space:  global
        .offset:         48
        .size:           8
        .value_kind:     global_buffer
      - .actual_access:  read_only
        .address_space:  global
        .offset:         56
        .size:           8
        .value_kind:     global_buffer
      - .actual_access:  read_only
        .address_space:  global
        .offset:         64
        .size:           8
        .value_kind:     global_buffer
      - .offset:         72
        .size:           4
        .value_kind:     by_value
      - .actual_access:  read_only
        .address_space:  global
        .offset:         80
        .size:           8
        .value_kind:     global_buffer
      - .offset:         88
        .size:           16
        .value_kind:     by_value
      - .address_space:  global
        .offset:         104
        .size:           8
        .value_kind:     global_buffer
      - .offset:         112
        .size:           4
        .value_kind:     by_value
      - .offset:         116
        .size:           1
        .value_kind:     by_value
    .group_segment_fixed_size: 1024
    .kernarg_segment_align: 8
    .kernarg_segment_size: 120
    .language:       OpenCL C
    .language_version:
      - 2
      - 0
    .max_flat_workgroup_size: 64
    .name:           _ZN9rocsparseL22bsrxmvn_general_kernelILj64ELj8E21rocsparse_complex_numIdEliS1_IfES2_S2_EEv20rocsparse_direction_NS_24const_host_device_scalarIT1_EET3_PKS8_PKT2_SD_SA_PKT4_S8_PKT5_S7_PT6_21rocsparse_index_base_b
    .private_segment_fixed_size: 0
    .sgpr_count:     46
    .sgpr_spill_count: 0
    .symbol:         _ZN9rocsparseL22bsrxmvn_general_kernelILj64ELj8E21rocsparse_complex_numIdEliS1_IfES2_S2_EEv20rocsparse_direction_NS_24const_host_device_scalarIT1_EET3_PKS8_PKT2_SD_SA_PKT4_S8_PKT5_S7_PT6_21rocsparse_index_base_b.kd
    .uniform_work_group_size: 1
    .uses_dynamic_stack: false
    .vgpr_count:     34
    .vgpr_spill_count: 0
    .wavefront_size: 64
  - .agpr_count:     0
    .args:
      - .offset:         0
        .size:           4
        .value_kind:     by_value
      - .offset:         8
        .size:           16
        .value_kind:     by_value
      - .offset:         24
        .size:           4
        .value_kind:     by_value
      - .actual_access:  read_only
        .address_space:  global
        .offset:         32
        .size:           8
        .value_kind:     global_buffer
      - .actual_access:  read_only
        .address_space:  global
        .offset:         40
        .size:           8
        .value_kind:     global_buffer
      - .actual_access:  read_only
        .address_space:  global
        .offset:         48
        .size:           8
        .value_kind:     global_buffer
      - .actual_access:  read_only
        .address_space:  global
        .offset:         56
        .size:           8
        .value_kind:     global_buffer
      - .actual_access:  read_only
        .address_space:  global
        .offset:         64
        .size:           8
        .value_kind:     global_buffer
      - .offset:         72
        .size:           4
        .value_kind:     by_value
      - .actual_access:  read_only
        .address_space:  global
        .offset:         80
        .size:           8
        .value_kind:     global_buffer
      - .offset:         88
        .size:           16
        .value_kind:     by_value
      - .address_space:  global
        .offset:         104
        .size:           8
        .value_kind:     global_buffer
      - .offset:         112
        .size:           4
        .value_kind:     by_value
      - .offset:         116
        .size:           1
        .value_kind:     by_value
    .group_segment_fixed_size: 4096
    .kernarg_segment_align: 8
    .kernarg_segment_size: 120
    .language:       OpenCL C
    .language_version:
      - 2
      - 0
    .max_flat_workgroup_size: 256
    .name:           _ZN9rocsparseL22bsrxmvn_general_kernelILj256ELj16E21rocsparse_complex_numIdEliS1_IfES2_S2_EEv20rocsparse_direction_NS_24const_host_device_scalarIT1_EET3_PKS8_PKT2_SD_SA_PKT4_S8_PKT5_S7_PT6_21rocsparse_index_base_b
    .private_segment_fixed_size: 0
    .sgpr_count:     46
    .sgpr_spill_count: 0
    .symbol:         _ZN9rocsparseL22bsrxmvn_general_kernelILj256ELj16E21rocsparse_complex_numIdEliS1_IfES2_S2_EEv20rocsparse_direction_NS_24const_host_device_scalarIT1_EET3_PKS8_PKT2_SD_SA_PKT4_S8_PKT5_S7_PT6_21rocsparse_index_base_b.kd
    .uniform_work_group_size: 1
    .uses_dynamic_stack: false
    .vgpr_count:     34
    .vgpr_spill_count: 0
    .wavefront_size: 64
  - .agpr_count:     0
    .args:
      - .offset:         0
        .size:           4
        .value_kind:     by_value
      - .offset:         8
        .size:           16
        .value_kind:     by_value
      - .offset:         24
        .size:           4
        .value_kind:     by_value
      - .actual_access:  read_only
        .address_space:  global
        .offset:         32
        .size:           8
        .value_kind:     global_buffer
      - .actual_access:  read_only
        .address_space:  global
        .offset:         40
        .size:           8
        .value_kind:     global_buffer
      - .actual_access:  read_only
        .address_space:  global
        .offset:         48
        .size:           8
        .value_kind:     global_buffer
      - .actual_access:  read_only
        .address_space:  global
        .offset:         56
        .size:           8
        .value_kind:     global_buffer
      - .actual_access:  read_only
        .address_space:  global
        .offset:         64
        .size:           8
        .value_kind:     global_buffer
      - .offset:         72
        .size:           4
        .value_kind:     by_value
      - .actual_access:  read_only
        .address_space:  global
        .offset:         80
        .size:           8
        .value_kind:     global_buffer
      - .offset:         88
        .size:           16
        .value_kind:     by_value
      - .address_space:  global
        .offset:         104
        .size:           8
        .value_kind:     global_buffer
      - .offset:         112
        .size:           4
        .value_kind:     by_value
      - .offset:         116
        .size:           1
        .value_kind:     by_value
    .group_segment_fixed_size: 16384
    .kernarg_segment_align: 8
    .kernarg_segment_size: 120
    .language:       OpenCL C
    .language_version:
      - 2
      - 0
    .max_flat_workgroup_size: 1024
    .name:           _ZN9rocsparseL22bsrxmvn_general_kernelILj1024ELj32E21rocsparse_complex_numIdEliS1_IfES2_S2_EEv20rocsparse_direction_NS_24const_host_device_scalarIT1_EET3_PKS8_PKT2_SD_SA_PKT4_S8_PKT5_S7_PT6_21rocsparse_index_base_b
    .private_segment_fixed_size: 0
    .sgpr_count:     46
    .sgpr_spill_count: 0
    .symbol:         _ZN9rocsparseL22bsrxmvn_general_kernelILj1024ELj32E21rocsparse_complex_numIdEliS1_IfES2_S2_EEv20rocsparse_direction_NS_24const_host_device_scalarIT1_EET3_PKS8_PKT2_SD_SA_PKT4_S8_PKT5_S7_PT6_21rocsparse_index_base_b.kd
    .uniform_work_group_size: 1
    .uses_dynamic_stack: false
    .vgpr_count:     34
    .vgpr_spill_count: 0
    .wavefront_size: 64
  - .agpr_count:     0
    .args:
      - .offset:         0
        .size:           4
        .value_kind:     by_value
      - .offset:         8
        .size:           16
        .value_kind:     by_value
      - .offset:         24
        .size:           8
        .value_kind:     by_value
      - .actual_access:  read_only
        .address_space:  global
        .offset:         32
        .size:           8
        .value_kind:     global_buffer
      - .actual_access:  read_only
        .address_space:  global
        .offset:         40
        .size:           8
        .value_kind:     global_buffer
      - .actual_access:  read_only
        .address_space:  global
        .offset:         48
        .size:           8
        .value_kind:     global_buffer
      - .actual_access:  read_only
        .address_space:  global
        .offset:         56
        .size:           8
        .value_kind:     global_buffer
      - .actual_access:  read_only
        .address_space:  global
        .offset:         64
        .size:           8
        .value_kind:     global_buffer
      - .offset:         72
        .size:           8
        .value_kind:     by_value
      - .actual_access:  read_only
        .address_space:  global
        .offset:         80
        .size:           8
        .value_kind:     global_buffer
      - .offset:         88
        .size:           16
        .value_kind:     by_value
      - .address_space:  global
        .offset:         104
        .size:           8
        .value_kind:     global_buffer
      - .offset:         112
        .size:           4
        .value_kind:     by_value
      - .offset:         116
        .size:           1
        .value_kind:     by_value
    .group_segment_fixed_size: 1024
    .kernarg_segment_align: 8
    .kernarg_segment_size: 120
    .language:       OpenCL C
    .language_version:
      - 2
      - 0
    .max_flat_workgroup_size: 64
    .name:           _ZN9rocsparseL22bsrxmvn_general_kernelILj64ELj8E21rocsparse_complex_numIdEllS1_IfES2_S2_EEv20rocsparse_direction_NS_24const_host_device_scalarIT1_EET3_PKS8_PKT2_SD_SA_PKT4_S8_PKT5_S7_PT6_21rocsparse_index_base_b
    .private_segment_fixed_size: 0
    .sgpr_count:     46
    .sgpr_spill_count: 0
    .symbol:         _ZN9rocsparseL22bsrxmvn_general_kernelILj64ELj8E21rocsparse_complex_numIdEllS1_IfES2_S2_EEv20rocsparse_direction_NS_24const_host_device_scalarIT1_EET3_PKS8_PKT2_SD_SA_PKT4_S8_PKT5_S7_PT6_21rocsparse_index_base_b.kd
    .uniform_work_group_size: 1
    .uses_dynamic_stack: false
    .vgpr_count:     34
    .vgpr_spill_count: 0
    .wavefront_size: 64
  - .agpr_count:     0
    .args:
      - .offset:         0
        .size:           4
        .value_kind:     by_value
      - .offset:         8
        .size:           16
        .value_kind:     by_value
      - .offset:         24
        .size:           8
        .value_kind:     by_value
      - .actual_access:  read_only
        .address_space:  global
        .offset:         32
        .size:           8
        .value_kind:     global_buffer
      - .actual_access:  read_only
        .address_space:  global
        .offset:         40
        .size:           8
        .value_kind:     global_buffer
      - .actual_access:  read_only
        .address_space:  global
        .offset:         48
        .size:           8
        .value_kind:     global_buffer
      - .actual_access:  read_only
        .address_space:  global
        .offset:         56
        .size:           8
        .value_kind:     global_buffer
      - .actual_access:  read_only
        .address_space:  global
        .offset:         64
        .size:           8
        .value_kind:     global_buffer
      - .offset:         72
        .size:           8
        .value_kind:     by_value
      - .actual_access:  read_only
        .address_space:  global
        .offset:         80
        .size:           8
        .value_kind:     global_buffer
      - .offset:         88
        .size:           16
        .value_kind:     by_value
      - .address_space:  global
        .offset:         104
        .size:           8
        .value_kind:     global_buffer
      - .offset:         112
        .size:           4
        .value_kind:     by_value
      - .offset:         116
        .size:           1
        .value_kind:     by_value
    .group_segment_fixed_size: 4096
    .kernarg_segment_align: 8
    .kernarg_segment_size: 120
    .language:       OpenCL C
    .language_version:
      - 2
      - 0
    .max_flat_workgroup_size: 256
    .name:           _ZN9rocsparseL22bsrxmvn_general_kernelILj256ELj16E21rocsparse_complex_numIdEllS1_IfES2_S2_EEv20rocsparse_direction_NS_24const_host_device_scalarIT1_EET3_PKS8_PKT2_SD_SA_PKT4_S8_PKT5_S7_PT6_21rocsparse_index_base_b
    .private_segment_fixed_size: 0
    .sgpr_count:     44
    .sgpr_spill_count: 0
    .symbol:         _ZN9rocsparseL22bsrxmvn_general_kernelILj256ELj16E21rocsparse_complex_numIdEllS1_IfES2_S2_EEv20rocsparse_direction_NS_24const_host_device_scalarIT1_EET3_PKS8_PKT2_SD_SA_PKT4_S8_PKT5_S7_PT6_21rocsparse_index_base_b.kd
    .uniform_work_group_size: 1
    .uses_dynamic_stack: false
    .vgpr_count:     34
    .vgpr_spill_count: 0
    .wavefront_size: 64
  - .agpr_count:     0
    .args:
      - .offset:         0
        .size:           4
        .value_kind:     by_value
      - .offset:         8
        .size:           16
        .value_kind:     by_value
      - .offset:         24
        .size:           8
        .value_kind:     by_value
      - .actual_access:  read_only
        .address_space:  global
        .offset:         32
        .size:           8
        .value_kind:     global_buffer
      - .actual_access:  read_only
        .address_space:  global
        .offset:         40
        .size:           8
        .value_kind:     global_buffer
      - .actual_access:  read_only
        .address_space:  global
        .offset:         48
        .size:           8
        .value_kind:     global_buffer
      - .actual_access:  read_only
        .address_space:  global
        .offset:         56
        .size:           8
        .value_kind:     global_buffer
      - .actual_access:  read_only
        .address_space:  global
        .offset:         64
        .size:           8
        .value_kind:     global_buffer
      - .offset:         72
        .size:           8
        .value_kind:     by_value
      - .actual_access:  read_only
        .address_space:  global
        .offset:         80
        .size:           8
        .value_kind:     global_buffer
      - .offset:         88
        .size:           16
        .value_kind:     by_value
      - .address_space:  global
        .offset:         104
        .size:           8
        .value_kind:     global_buffer
      - .offset:         112
        .size:           4
        .value_kind:     by_value
      - .offset:         116
        .size:           1
        .value_kind:     by_value
    .group_segment_fixed_size: 16384
    .kernarg_segment_align: 8
    .kernarg_segment_size: 120
    .language:       OpenCL C
    .language_version:
      - 2
      - 0
    .max_flat_workgroup_size: 1024
    .name:           _ZN9rocsparseL22bsrxmvn_general_kernelILj1024ELj32E21rocsparse_complex_numIdEllS1_IfES2_S2_EEv20rocsparse_direction_NS_24const_host_device_scalarIT1_EET3_PKS8_PKT2_SD_SA_PKT4_S8_PKT5_S7_PT6_21rocsparse_index_base_b
    .private_segment_fixed_size: 0
    .sgpr_count:     46
    .sgpr_spill_count: 0
    .symbol:         _ZN9rocsparseL22bsrxmvn_general_kernelILj1024ELj32E21rocsparse_complex_numIdEllS1_IfES2_S2_EEv20rocsparse_direction_NS_24const_host_device_scalarIT1_EET3_PKS8_PKT2_SD_SA_PKT4_S8_PKT5_S7_PT6_21rocsparse_index_base_b.kd
    .uniform_work_group_size: 1
    .uses_dynamic_stack: false
    .vgpr_count:     34
    .vgpr_spill_count: 0
    .wavefront_size: 64
amdhsa.target:   amdgcn-amd-amdhsa--gfx90a
amdhsa.version:
  - 1
  - 2
...

	.end_amdgpu_metadata
